;; amdgpu-corpus repo=ROCm/rocFFT kind=compiled arch=gfx950 opt=O3
	.text
	.amdgcn_target "amdgcn-amd-amdhsa--gfx950"
	.amdhsa_code_object_version 6
	.protected	fft_rtc_fwd_len1530_factors_17_3_6_5_wgs_102_tpt_102_halfLds_sp_ip_CI_sbrr_dirReg ; -- Begin function fft_rtc_fwd_len1530_factors_17_3_6_5_wgs_102_tpt_102_halfLds_sp_ip_CI_sbrr_dirReg
	.globl	fft_rtc_fwd_len1530_factors_17_3_6_5_wgs_102_tpt_102_halfLds_sp_ip_CI_sbrr_dirReg
	.p2align	8
	.type	fft_rtc_fwd_len1530_factors_17_3_6_5_wgs_102_tpt_102_halfLds_sp_ip_CI_sbrr_dirReg,@function
fft_rtc_fwd_len1530_factors_17_3_6_5_wgs_102_tpt_102_halfLds_sp_ip_CI_sbrr_dirReg: ; @fft_rtc_fwd_len1530_factors_17_3_6_5_wgs_102_tpt_102_halfLds_sp_ip_CI_sbrr_dirReg
; %bb.0:
	s_load_dwordx2 s[12:13], s[0:1], 0x18
	s_load_dwordx4 s[4:7], s[0:1], 0x0
	s_load_dwordx2 s[10:11], s[0:1], 0x50
	v_mul_u32_u24_e32 v1, 0x283, v0
	v_add_u32_sdwa v6, s2, v1 dst_sel:DWORD dst_unused:UNUSED_PAD src0_sel:DWORD src1_sel:WORD_1
	s_waitcnt lgkmcnt(0)
	s_load_dwordx2 s[8:9], s[12:13], 0x0
	v_mov_b32_e32 v4, 0
	v_cmp_lt_u64_e64 s[2:3], s[6:7], 2
	v_mov_b32_e32 v7, v4
	s_and_b64 vcc, exec, s[2:3]
	v_mov_b64_e32 v[2:3], 0
	s_cbranch_vccnz .LBB0_8
; %bb.1:
	s_load_dwordx2 s[2:3], s[0:1], 0x10
	s_add_u32 s14, s12, 8
	s_addc_u32 s15, s13, 0
	s_mov_b64 s[16:17], 1
	v_mov_b64_e32 v[2:3], 0
	s_waitcnt lgkmcnt(0)
	s_add_u32 s18, s2, 8
	s_addc_u32 s19, s3, 0
.LBB0_2:                                ; =>This Inner Loop Header: Depth=1
	s_load_dwordx2 s[20:21], s[18:19], 0x0
                                        ; implicit-def: $vgpr8_vgpr9
	s_waitcnt lgkmcnt(0)
	v_or_b32_e32 v5, s21, v7
	v_cmp_ne_u64_e32 vcc, 0, v[4:5]
	s_and_saveexec_b64 s[2:3], vcc
	s_xor_b64 s[22:23], exec, s[2:3]
	s_cbranch_execz .LBB0_4
; %bb.3:                                ;   in Loop: Header=BB0_2 Depth=1
	v_cvt_f32_u32_e32 v1, s20
	v_cvt_f32_u32_e32 v5, s21
	s_sub_u32 s2, 0, s20
	s_subb_u32 s3, 0, s21
	v_fmac_f32_e32 v1, 0x4f800000, v5
	v_rcp_f32_e32 v1, v1
	s_nop 0
	v_mul_f32_e32 v1, 0x5f7ffffc, v1
	v_mul_f32_e32 v5, 0x2f800000, v1
	v_trunc_f32_e32 v5, v5
	v_fmac_f32_e32 v1, 0xcf800000, v5
	v_cvt_u32_f32_e32 v5, v5
	v_cvt_u32_f32_e32 v1, v1
	v_mul_lo_u32 v8, s2, v5
	v_mul_hi_u32 v10, s2, v1
	v_mul_lo_u32 v9, s3, v1
	v_add_u32_e32 v10, v10, v8
	v_mul_lo_u32 v12, s2, v1
	v_add_u32_e32 v13, v10, v9
	v_mul_hi_u32 v8, v1, v12
	v_mul_hi_u32 v11, v1, v13
	v_mul_lo_u32 v10, v1, v13
	v_mov_b32_e32 v9, v4
	v_lshl_add_u64 v[8:9], v[8:9], 0, v[10:11]
	v_mul_hi_u32 v11, v5, v12
	v_mul_lo_u32 v12, v5, v12
	v_add_co_u32_e32 v8, vcc, v8, v12
	v_mul_hi_u32 v10, v5, v13
	s_nop 0
	v_addc_co_u32_e32 v8, vcc, v9, v11, vcc
	v_mov_b32_e32 v9, v4
	s_nop 0
	v_addc_co_u32_e32 v11, vcc, 0, v10, vcc
	v_mul_lo_u32 v10, v5, v13
	v_lshl_add_u64 v[8:9], v[8:9], 0, v[10:11]
	v_add_co_u32_e32 v1, vcc, v1, v8
	v_mul_lo_u32 v10, s2, v1
	s_nop 0
	v_addc_co_u32_e32 v5, vcc, v5, v9, vcc
	v_mul_lo_u32 v8, s2, v5
	v_mul_hi_u32 v9, s2, v1
	v_add_u32_e32 v8, v9, v8
	v_mul_lo_u32 v9, s3, v1
	v_add_u32_e32 v12, v8, v9
	v_mul_hi_u32 v14, v5, v10
	v_mul_lo_u32 v15, v5, v10
	v_mul_hi_u32 v9, v1, v12
	v_mul_lo_u32 v8, v1, v12
	v_mul_hi_u32 v10, v1, v10
	v_mov_b32_e32 v11, v4
	v_lshl_add_u64 v[8:9], v[10:11], 0, v[8:9]
	v_add_co_u32_e32 v8, vcc, v8, v15
	v_mul_hi_u32 v13, v5, v12
	s_nop 0
	v_addc_co_u32_e32 v8, vcc, v9, v14, vcc
	v_mul_lo_u32 v10, v5, v12
	s_nop 0
	v_addc_co_u32_e32 v11, vcc, 0, v13, vcc
	v_mov_b32_e32 v9, v4
	v_lshl_add_u64 v[8:9], v[8:9], 0, v[10:11]
	v_add_co_u32_e32 v1, vcc, v1, v8
	v_mul_hi_u32 v10, v6, v1
	s_nop 0
	v_addc_co_u32_e32 v5, vcc, v5, v9, vcc
	v_mad_u64_u32 v[8:9], s[2:3], v6, v5, 0
	v_mov_b32_e32 v11, v4
	v_lshl_add_u64 v[8:9], v[10:11], 0, v[8:9]
	v_mad_u64_u32 v[12:13], s[2:3], v7, v1, 0
	v_add_co_u32_e32 v1, vcc, v8, v12
	v_mad_u64_u32 v[10:11], s[2:3], v7, v5, 0
	s_nop 0
	v_addc_co_u32_e32 v8, vcc, v9, v13, vcc
	v_mov_b32_e32 v9, v4
	s_nop 0
	v_addc_co_u32_e32 v11, vcc, 0, v11, vcc
	v_lshl_add_u64 v[8:9], v[8:9], 0, v[10:11]
	v_mul_lo_u32 v1, s21, v8
	v_mul_lo_u32 v5, s20, v9
	v_mad_u64_u32 v[10:11], s[2:3], s20, v8, 0
	v_add3_u32 v1, v11, v5, v1
	v_sub_u32_e32 v5, v7, v1
	v_mov_b32_e32 v11, s21
	v_sub_co_u32_e32 v14, vcc, v6, v10
	v_lshl_add_u64 v[12:13], v[8:9], 0, 1
	s_nop 0
	v_subb_co_u32_e64 v5, s[2:3], v5, v11, vcc
	v_subrev_co_u32_e64 v10, s[2:3], s20, v14
	v_subb_co_u32_e32 v1, vcc, v7, v1, vcc
	s_nop 0
	v_subbrev_co_u32_e64 v5, s[2:3], 0, v5, s[2:3]
	v_cmp_le_u32_e64 s[2:3], s21, v5
	v_cmp_le_u32_e32 vcc, s21, v1
	s_nop 0
	v_cndmask_b32_e64 v11, 0, -1, s[2:3]
	v_cmp_le_u32_e64 s[2:3], s20, v10
	s_nop 1
	v_cndmask_b32_e64 v10, 0, -1, s[2:3]
	v_cmp_eq_u32_e64 s[2:3], s21, v5
	s_nop 1
	v_cndmask_b32_e64 v5, v11, v10, s[2:3]
	v_lshl_add_u64 v[10:11], v[8:9], 0, 2
	v_cmp_ne_u32_e64 s[2:3], 0, v5
	s_nop 1
	v_cndmask_b32_e64 v5, v13, v11, s[2:3]
	v_cndmask_b32_e64 v11, 0, -1, vcc
	v_cmp_le_u32_e32 vcc, s20, v14
	s_nop 1
	v_cndmask_b32_e64 v13, 0, -1, vcc
	v_cmp_eq_u32_e32 vcc, s21, v1
	s_nop 1
	v_cndmask_b32_e32 v1, v11, v13, vcc
	v_cmp_ne_u32_e32 vcc, 0, v1
	v_cndmask_b32_e64 v1, v12, v10, s[2:3]
	s_nop 0
	v_cndmask_b32_e32 v9, v9, v5, vcc
	v_cndmask_b32_e32 v8, v8, v1, vcc
.LBB0_4:                                ;   in Loop: Header=BB0_2 Depth=1
	s_andn2_saveexec_b64 s[2:3], s[22:23]
	s_cbranch_execz .LBB0_6
; %bb.5:                                ;   in Loop: Header=BB0_2 Depth=1
	v_cvt_f32_u32_e32 v1, s20
	s_sub_i32 s22, 0, s20
	v_rcp_iflag_f32_e32 v1, v1
	s_nop 0
	v_mul_f32_e32 v1, 0x4f7ffffe, v1
	v_cvt_u32_f32_e32 v1, v1
	v_mul_lo_u32 v5, s22, v1
	v_mul_hi_u32 v5, v1, v5
	v_add_u32_e32 v1, v1, v5
	v_mul_hi_u32 v1, v6, v1
	v_mul_lo_u32 v5, v1, s20
	v_sub_u32_e32 v5, v6, v5
	v_add_u32_e32 v8, 1, v1
	v_subrev_u32_e32 v9, s20, v5
	v_cmp_le_u32_e32 vcc, s20, v5
	s_nop 1
	v_cndmask_b32_e32 v5, v5, v9, vcc
	v_cndmask_b32_e32 v1, v1, v8, vcc
	v_add_u32_e32 v8, 1, v1
	v_cmp_le_u32_e32 vcc, s20, v5
	v_mov_b32_e32 v9, v4
	s_nop 0
	v_cndmask_b32_e32 v8, v1, v8, vcc
.LBB0_6:                                ;   in Loop: Header=BB0_2 Depth=1
	s_or_b64 exec, exec, s[2:3]
	v_mad_u64_u32 v[10:11], s[2:3], v8, s20, 0
	s_load_dwordx2 s[2:3], s[14:15], 0x0
	v_mul_lo_u32 v1, v9, s20
	v_mul_lo_u32 v5, v8, s21
	v_add3_u32 v1, v11, v5, v1
	v_sub_co_u32_e32 v5, vcc, v6, v10
	s_add_u32 s16, s16, 1
	s_nop 0
	v_subb_co_u32_e32 v1, vcc, v7, v1, vcc
	s_addc_u32 s17, s17, 0
	s_waitcnt lgkmcnt(0)
	v_mul_lo_u32 v1, s2, v1
	v_mul_lo_u32 v6, s3, v5
	v_mad_u64_u32 v[2:3], s[2:3], s2, v5, v[2:3]
	s_add_u32 s14, s14, 8
	v_add3_u32 v3, v6, v3, v1
	s_addc_u32 s15, s15, 0
	v_mov_b64_e32 v[6:7], s[6:7]
	s_add_u32 s18, s18, 8
	v_cmp_ge_u64_e32 vcc, s[16:17], v[6:7]
	s_addc_u32 s19, s19, 0
	s_cbranch_vccnz .LBB0_9
; %bb.7:                                ;   in Loop: Header=BB0_2 Depth=1
	v_mov_b64_e32 v[6:7], v[8:9]
	s_branch .LBB0_2
.LBB0_8:
	v_mov_b64_e32 v[8:9], v[6:7]
.LBB0_9:
	s_lshl_b64 s[2:3], s[6:7], 3
	s_add_u32 s2, s12, s2
	s_addc_u32 s3, s13, s3
	s_load_dwordx2 s[6:7], s[2:3], 0x0
	s_load_dwordx2 s[12:13], s[0:1], 0x20
	v_mov_b32_e32 v43, 0
	v_mov_b32_e32 v51, 0
                                        ; implicit-def: $vgpr6
                                        ; implicit-def: $vgpr18
                                        ; implicit-def: $vgpr20
                                        ; implicit-def: $vgpr24
                                        ; implicit-def: $vgpr28
                                        ; implicit-def: $vgpr10
                                        ; implicit-def: $vgpr26
                                        ; implicit-def: $vgpr16
                                        ; implicit-def: $vgpr22
                                        ; implicit-def: $vgpr30
                                        ; implicit-def: $vgpr34
                                        ; implicit-def: $vgpr12
                                        ; implicit-def: $vgpr14
	s_waitcnt lgkmcnt(0)
	v_mad_u64_u32 v[2:3], s[0:1], s6, v8, v[2:3]
	v_mul_lo_u32 v1, s6, v9
	v_mul_lo_u32 v4, s7, v8
	s_mov_b32 s0, 0x2828283
	v_add3_u32 v3, v4, v3, v1
	v_mul_hi_u32 v1, v0, s0
	v_mul_u32_u24_e32 v1, 0x66, v1
	v_sub_u32_e32 v116, v0, v1
	s_movk_i32 s0, 0x5a
	v_cmp_gt_u64_e32 vcc, s[12:13], v[8:9]
	v_cmp_gt_u32_e64 s[0:1], s0, v116
	s_and_b64 s[6:7], vcc, s[0:1]
	v_lshl_add_u64 v[0:1], v[2:3], 3, s[10:11]
                                        ; implicit-def: $vgpr4
                                        ; implicit-def: $vgpr8
	s_and_saveexec_b64 s[2:3], s[6:7]
	s_cbranch_execz .LBB0_11
; %bb.10:
	v_mad_u64_u32 v[2:3], s[6:7], s8, v116, 0
	v_mov_b32_e32 v4, v3
	v_mad_u64_u32 v[4:5], s[6:7], s9, v116, v[4:5]
	v_add_u32_e32 v7, 0x5a, v116
	v_mov_b32_e32 v3, v4
	v_mad_u64_u32 v[4:5], s[6:7], s8, v7, 0
	v_mov_b32_e32 v6, v5
	v_mad_u64_u32 v[6:7], s[6:7], s9, v7, v[6:7]
	v_mov_b32_e32 v5, v6
	v_add_u32_e32 v7, 0xb4, v116
	v_lshl_add_u64 v[10:11], v[4:5], 3, v[0:1]
	v_mad_u64_u32 v[4:5], s[6:7], s8, v7, 0
	v_mov_b32_e32 v6, v5
	v_mad_u64_u32 v[6:7], s[6:7], s9, v7, v[6:7]
	v_mov_b32_e32 v5, v6
	v_add_u32_e32 v7, 0x10e, v116
	v_lshl_add_u64 v[12:13], v[4:5], 3, v[0:1]
	v_mad_u64_u32 v[4:5], s[6:7], s8, v7, 0
	v_mov_b32_e32 v6, v5
	v_mad_u64_u32 v[6:7], s[6:7], s9, v7, v[6:7]
	v_lshl_add_u64 v[2:3], v[2:3], 3, v[0:1]
	v_mov_b32_e32 v5, v6
	v_lshl_add_u64 v[14:15], v[4:5], 3, v[0:1]
	global_load_dwordx2 v[32:33], v[2:3], off
	global_load_dwordx2 v[4:5], v[10:11], off
	;; [unrolled: 1-line block ×4, first 2 shown]
	v_add_u32_e32 v11, 0x168, v116
	v_mad_u64_u32 v[2:3], s[6:7], s8, v11, 0
	v_mov_b32_e32 v10, v3
	v_mad_u64_u32 v[10:11], s[6:7], s9, v11, v[10:11]
	v_add_u32_e32 v13, 0x1c2, v116
	v_mov_b32_e32 v3, v10
	v_mad_u64_u32 v[10:11], s[6:7], s8, v13, 0
	v_mov_b32_e32 v12, v11
	v_mad_u64_u32 v[12:13], s[6:7], s9, v13, v[12:13]
	v_add_u32_e32 v15, 0x21c, v116
	v_mov_b32_e32 v11, v12
	;; [unrolled: 5-line block ×3, first 2 shown]
	v_mad_u64_u32 v[14:15], s[6:7], s8, v17, 0
	v_mov_b32_e32 v16, v15
	v_mad_u64_u32 v[16:17], s[6:7], s9, v17, v[16:17]
	v_lshl_add_u64 v[2:3], v[2:3], 3, v[0:1]
	v_lshl_add_u64 v[10:11], v[10:11], 3, v[0:1]
	v_mov_b32_e32 v15, v16
	v_lshl_add_u64 v[12:13], v[12:13], 3, v[0:1]
	v_lshl_add_u64 v[14:15], v[14:15], 3, v[0:1]
	global_load_dwordx2 v[18:19], v[2:3], off
	global_load_dwordx2 v[20:21], v[10:11], off
	;; [unrolled: 1-line block ×4, first 2 shown]
	v_add_u32_e32 v11, 0x2d0, v116
	v_mad_u64_u32 v[2:3], s[6:7], s8, v11, 0
	v_mov_b32_e32 v10, v3
	v_mad_u64_u32 v[10:11], s[6:7], s9, v11, v[10:11]
	v_add_u32_e32 v13, 0x32a, v116
	v_mov_b32_e32 v3, v10
	v_mad_u64_u32 v[10:11], s[6:7], s8, v13, 0
	v_mov_b32_e32 v12, v11
	v_mad_u64_u32 v[12:13], s[6:7], s9, v13, v[12:13]
	v_mov_b32_e32 v11, v12
	v_add_u32_e32 v13, 0x384, v116
	v_lshl_add_u64 v[16:17], v[10:11], 3, v[0:1]
	v_mad_u64_u32 v[10:11], s[6:7], s8, v13, 0
	v_mov_b32_e32 v12, v11
	v_mad_u64_u32 v[12:13], s[6:7], s9, v13, v[12:13]
	v_mov_b32_e32 v11, v12
	v_add_u32_e32 v13, 0x3de, v116
	v_lshl_add_u64 v[22:23], v[10:11], 3, v[0:1]
	v_mad_u64_u32 v[10:11], s[6:7], s8, v13, 0
	v_mov_b32_e32 v12, v11
	v_mad_u64_u32 v[12:13], s[6:7], s9, v13, v[12:13]
	v_lshl_add_u64 v[2:3], v[2:3], 3, v[0:1]
	v_mov_b32_e32 v11, v12
	v_lshl_add_u64 v[26:27], v[10:11], 3, v[0:1]
	global_load_dwordx2 v[10:11], v[2:3], off
	global_load_dwordx2 v[50:51], v[16:17], off
	;; [unrolled: 1-line block ×4, first 2 shown]
	v_add_u32_e32 v17, 0x438, v116
	v_mad_u64_u32 v[2:3], s[6:7], s8, v17, 0
	v_mov_b32_e32 v16, v3
	v_mad_u64_u32 v[16:17], s[6:7], s9, v17, v[16:17]
	v_add_u32_e32 v23, 0x492, v116
	v_mov_b32_e32 v3, v16
	v_mad_u64_u32 v[16:17], s[6:7], s8, v23, 0
	v_mov_b32_e32 v22, v17
	v_mad_u64_u32 v[22:23], s[6:7], s9, v23, v[22:23]
	v_mov_b32_e32 v17, v22
	v_add_u32_e32 v23, 0x4ec, v116
	v_lshl_add_u64 v[26:27], v[16:17], 3, v[0:1]
	v_mad_u64_u32 v[16:17], s[6:7], s8, v23, 0
	v_mov_b32_e32 v22, v17
	v_mad_u64_u32 v[22:23], s[6:7], s9, v23, v[22:23]
	v_mov_b32_e32 v17, v22
	v_add_u32_e32 v23, 0x546, v116
	v_lshl_add_u64 v[36:37], v[16:17], 3, v[0:1]
	v_mad_u64_u32 v[16:17], s[6:7], s8, v23, 0
	v_mov_b32_e32 v22, v17
	v_mad_u64_u32 v[22:23], s[6:7], s9, v23, v[22:23]
	v_lshl_add_u64 v[2:3], v[2:3], 3, v[0:1]
	v_mov_b32_e32 v17, v22
	v_lshl_add_u64 v[38:39], v[16:17], 3, v[0:1]
	global_load_dwordx2 v[34:35], v[2:3], off
	global_load_dwordx2 v[30:31], v[26:27], off
	;; [unrolled: 1-line block ×4, first 2 shown]
	v_add_u32_e32 v27, 0x5a0, v116
	v_mad_u64_u32 v[2:3], s[6:7], s8, v27, 0
	v_mov_b32_e32 v26, v3
	v_mad_u64_u32 v[26:27], s[6:7], s9, v27, v[26:27]
	v_mov_b32_e32 v3, v26
	v_lshl_add_u64 v[2:3], v[2:3], 3, v[0:1]
	global_load_dwordx2 v[26:27], v[2:3], off
	s_waitcnt vmcnt(16)
	v_mov_b32_e32 v43, v33
	s_waitcnt vmcnt(7)
	v_mov_b32_e32 v42, v51
	v_mov_b32_e32 v51, v32
.LBB0_11:
	s_or_b64 exec, exec, s[2:3]
	s_mov_b32 s2, 0x3f3d2fb0
	s_waitcnt vmcnt(0)
	v_pk_add_f32 v[58:59], v[4:5], v[26:27]
	s_mov_b32 s3, 0x3f6eb680
	s_mov_b32 s22, 0xbf2c7751
	v_pk_add_f32 v[40:41], v[4:5], v[26:27] neg_lo:[0,1] neg_hi:[0,1]
	v_pk_add_f32 v[56:57], v[6:7], v[16:17]
	v_pk_mul_f32 v[78:79], v[58:59], s[2:3] op_sel_hi:[0,1]
	s_mov_b32 s23, 0xbeb8f4ab
	s_mov_b32 s6, 0x3dbcf732
	;; [unrolled: 1-line block ×4, first 2 shown]
	v_pk_add_f32 v[38:39], v[6:7], v[16:17] neg_lo:[0,1] neg_hi:[0,1]
	v_pk_add_f32 v[54:55], v[8:9], v[22:23]
	v_pk_fma_f32 v[2:3], v[40:41], s[22:23], v[78:79] op_sel:[1,0,0]
	v_mov_b32_e32 v44, v51
	v_pk_mul_f32 v[80:81], v[56:57], s[6:7] op_sel_hi:[0,1]
	s_mov_b32 s24, 0xbf7ee86f
	s_mov_b32 s25, s22
	;; [unrolled: 1-line block ×4, first 2 shown]
	v_pk_add_f32 v[36:37], v[8:9], v[22:23] neg_lo:[0,1] neg_hi:[0,1]
	v_pk_add_f32 v[52:53], v[18:19], v[30:31]
	v_pk_add_f32 v[2:3], v[44:45], v[2:3] op_sel_hi:[0,1]
	v_pk_fma_f32 v[44:45], v[38:39], s[24:25], v[80:81] op_sel:[1,0,0]
	v_pk_mul_f32 v[82:83], v[54:55], s[10:11] op_sel_hi:[0,1]
	s_mov_b32 s27, 0xbf65296c
	s_mov_b32 s12, 0xbf7ba420
	s_mov_b32 s13, s6
	v_pk_add_f32 v[32:33], v[18:19], v[30:31] neg_lo:[0,1] neg_hi:[0,1]
	v_pk_add_f32 v[2:3], v[2:3], v[44:45]
	v_pk_fma_f32 v[44:45], v[36:37], s[26:27], v[82:83] op_sel:[1,0,0]
	v_pk_mul_f32 v[84:85], v[52:53], s[12:13] op_sel_hi:[0,1]
	s_mov_b32 s28, 0xbe3c28d5
	s_mov_b32 s29, s24
	;; [unrolled: 1-line block ×3, first 2 shown]
	v_pk_add_f32 v[2:3], v[2:3], v[44:45]
	v_pk_fma_f32 v[44:45], v[32:33], s[28:29], v[84:85] op_sel:[1,0,0]
	s_mov_b32 s15, 0xbe8c1d8e
	s_mov_b32 s30, 0x3f06c442
	v_pk_add_f32 v[60:61], v[20:21], v[34:35]
	v_pk_add_f32 v[2:3], v[2:3], v[44:45]
	s_mov_b32 s31, 0xbf763a35
	v_pk_add_f32 v[44:45], v[20:21], v[34:35] neg_lo:[0,1] neg_hi:[0,1]
	v_pk_mul_f32 v[86:87], v[60:61], s[14:15] op_sel_hi:[0,1]
	v_pk_fma_f32 v[46:47], v[44:45], s[30:31], v[86:87] op_sel:[1,0,0]
	s_mov_b32 s16, s15
	s_mov_b32 s17, s10
	v_pk_add_f32 v[62:63], v[24:25], v[12:13]
	v_pk_add_f32 v[2:3], v[2:3], v[46:47]
	s_mov_b32 s34, 0x3f763a35
	s_mov_b32 s35, s26
	v_pk_add_f32 v[46:47], v[24:25], v[12:13] neg_lo:[0,1] neg_hi:[0,1]
	v_pk_mul_f32 v[88:89], v[62:63], s[16:17] op_sel_hi:[0,1]
	v_pk_fma_f32 v[48:49], v[46:47], s[34:35], v[88:89] op_sel:[1,0,0]
	s_mov_b32 s18, s11
	s_mov_b32 s19, s14
	;; [unrolled: 1-line block ×3, first 2 shown]
	v_pk_add_f32 v[64:65], v[28:29], v[14:15]
	v_pk_add_f32 v[2:3], v[2:3], v[48:49]
	s_mov_b32 s37, 0xbf06c442
	v_pk_add_f32 v[48:49], v[28:29], v[14:15] neg_lo:[0,1] neg_hi:[0,1]
	v_pk_mul_f32 v[90:91], v[64:65], s[18:19] op_sel_hi:[0,1]
	v_pk_fma_f32 v[66:67], v[48:49], s[36:37], v[90:91] op_sel:[1,0,0]
	s_mov_b32 s20, s3
	v_pk_add_f32 v[2:3], v[2:3], v[66:67]
	v_mov_b32_e32 v66, v11
	s_mov_b32 s21, s12
	v_pk_add_f32 v[70:71], v[10:11], v[50:51]
	v_pk_add_f32 v[68:69], v[66:67], v[42:43] op_sel_hi:[0,1] neg_lo:[0,1] neg_hi:[0,1]
	s_mov_b32 s38, 0x3eb8f4ab
	s_mov_b32 s39, s28
	v_pk_mul_f32 v[92:93], v[70:71], s[20:21] op_sel_hi:[0,1]
	v_pk_fma_f32 v[66:67], v[68:69], s[38:39], v[92:93] op_sel_hi:[0,1,1]
	v_pk_add_f32 v[2:3], v[2:3], v[66:67]
	v_mov_b32_e32 v66, v11
	v_mov_b32_e32 v67, v11
	s_and_saveexec_b64 s[40:41], s[0:1]
	s_cbranch_execz .LBB0_13
; %bb.12:
	v_mov_b32_e32 v94, v58
	v_mov_b32_e32 v95, v58
	s_mov_b32 s48, s10
	s_mov_b32 s49, s14
	v_mov_b32_e32 v72, v41
	v_mov_b32_e32 v73, v41
	;; [unrolled: 1-line block ×4, first 2 shown]
	s_mov_b32 s42, s26
	s_mov_b32 s43, s37
	;; [unrolled: 1-line block ×4, first 2 shown]
	v_pk_mul_f32 v[98:99], v[94:95], s[48:49]
	v_mov_b32_e32 v74, v51
	v_mov_b32_e32 v75, v51
	;; [unrolled: 1-line block ×4, first 2 shown]
	s_mov_b32 s44, s34
	s_mov_b32 s45, s36
	v_pk_fma_f32 v[100:101], v[72:73], s[42:43], v[98:99]
	v_pk_mul_f32 v[112:113], v[96:97], s[46:47]
	v_pk_add_f32 v[100:101], v[74:75], v[100:101]
	v_pk_fma_f32 v[102:103], v[76:77], s[44:45], v[112:113]
	v_mov_b32_e32 v114, v54
	v_mov_b32_e32 v115, v54
	s_mov_b32 s48, s3
	s_mov_b32 s49, s6
	v_pk_add_f32 v[102:103], v[100:101], v[102:103]
	v_mov_b32_e32 v100, v37
	v_mov_b32_e32 v101, v37
	s_mov_b32 s46, s23
	s_mov_b32 s47, s24
	v_pk_mul_f32 v[118:119], v[114:115], s[48:49]
	v_mov_b32_e32 v120, v52
	v_pk_fma_f32 v[104:105], v[100:101], s[46:47], v[118:119]
	v_mov_b32_e32 v121, v52
	s_mov_b32 s50, s14
	s_mov_b32 s51, s10
	v_pk_add_f32 v[104:105], v[102:103], v[104:105]
	v_mov_b32_e32 v102, v33
	v_mov_b32_e32 v103, v33
	s_mov_b32 s49, 0x3f4c4adb
	s_mov_b32 s48, s37
	v_pk_mul_f32 v[122:123], v[120:121], s[50:51]
	v_mov_b32_e32 v124, v60
	v_pk_fma_f32 v[106:107], v[102:103], s[48:49], v[122:123]
	;; [unrolled: 11-line block ×5, first 2 shown]
	s_mov_b32 s58, s11
	s_mov_b32 s59, s15
	v_pk_add_f32 v[136:137], v[110:111], v[136:137]
	v_mov_b32_e32 v110, v68
	v_mov_b32_e32 v111, v68
	s_mov_b32 s56, s36
	s_mov_b32 s57, s31
	v_pk_mul_f32 v[138:139], v[70:71], s[58:59]
	s_movk_i32 s33, 0x44
	v_pk_fma_f32 v[140:141], v[110:111], s[56:57], v[138:139]
	v_mad_u32_u24 v158, v116, s33, 0
	v_pk_add_f32 v[136:137], v[136:137], v[140:141]
	ds_write2_b32 v158, v137, v136 offset0:10 offset1:11
	v_mov_b32_e32 v136, v51
	v_pk_add_f32 v[136:137], v[136:137], v[4:5]
	v_pk_mul_f32 v[140:141], v[40:41], s[22:23] op_sel:[1,0]
	v_pk_add_f32 v[136:137], v[136:137], v[6:7]
	v_pk_add_f32 v[142:143], v[78:79], v[140:141] neg_lo:[0,1] neg_hi:[0,1]
	v_pk_add_f32 v[136:137], v[136:137], v[8:9]
	v_mul_f32_e32 v141, 0xbf65296c, v41
	v_pk_add_f32 v[136:137], v[136:137], v[18:19]
	v_mul_f32_e32 v117, 0x3f6eb680, v62
	v_pk_add_f32 v[136:137], v[136:137], v[20:21]
	s_mov_b32 s58, s6
	v_pk_add_f32 v[136:137], v[136:137], v[24:25]
	s_mov_b32 s60, s24
	;; [unrolled: 2-line block ×4, first 2 shown]
	v_mov_b32_e32 v137, v143
	v_pk_mul_f32 v[142:143], v[38:39], s[24:25] op_sel:[1,0]
	v_pk_add_f32 v[136:137], v[136:137], v[50:51]
	v_pk_add_f32 v[144:145], v[80:81], v[142:143] neg_lo:[0,1] neg_hi:[0,1]
	v_mul_f32_e32 v143, 0xbf4c4adb, v39
	v_mov_b32_e32 v144, v14
	v_pk_add_f32 v[136:137], v[144:145], v[136:137]
	v_pk_mul_f32 v[144:145], v[36:37], s[26:27] op_sel:[1,0]
	s_mov_b32 s65, s30
	v_pk_add_f32 v[146:147], v[82:83], v[144:145] neg_lo:[0,1] neg_hi:[0,1]
	v_mul_f32_e32 v145, 0x3e3c28d5, v37
	v_mov_b32_e32 v146, v12
	v_pk_add_f32 v[136:137], v[146:147], v[136:137]
	v_pk_mul_f32 v[146:147], v[32:33], s[28:29] op_sel:[1,0]
	s_mov_b32 s62, s3
	v_pk_add_f32 v[148:149], v[84:85], v[146:147] neg_lo:[0,1] neg_hi:[0,1]
	v_mul_f32_e32 v147, 0x3f763a35, v33
	v_mov_b32_e32 v148, v34
	v_pk_add_f32 v[136:137], v[148:149], v[136:137]
	v_pk_mul_f32 v[148:149], v[44:45], s[30:31] op_sel:[1,0]
	v_mul_f32_e32 v34, 0x3f3d2fb0, v60
	v_pk_add_f32 v[150:151], v[86:87], v[148:149] neg_lo:[0,1] neg_hi:[0,1]
	v_mul_f32_e32 v149, 0x3f2c7751, v45
	v_mov_b32_e32 v150, v30
	v_pk_add_f32 v[136:137], v[150:151], v[136:137]
	v_pk_mul_f32 v[150:151], v[46:47], s[34:35] op_sel:[1,0]
	v_mul_f32_e32 v30, 0xbe8c1d8e, v52
	v_pk_add_f32 v[152:153], v[88:89], v[150:151] neg_lo:[0,1] neg_hi:[0,1]
	v_mov_b32_e32 v85, v30
	v_mov_b32_e32 v152, v22
	v_pk_add_f32 v[136:137], v[152:153], v[136:137]
	v_pk_mul_f32 v[152:153], v[48:49], s[36:37] op_sel:[1,0]
	v_mul_f32_e32 v22, 0xbf1a4643, v56
	v_pk_add_f32 v[154:155], v[90:91], v[152:153] neg_lo:[0,1] neg_hi:[0,1]
	v_mov_b32_e32 v81, v22
	v_mov_b32_e32 v154, v16
	v_pk_add_f32 v[136:137], v[154:155], v[136:137]
	v_pk_mul_f32 v[154:155], v[68:69], s[38:39] op_sel_hi:[0,1]
	v_mul_f32_e32 v16, 0x3ee437d1, v58
	v_pk_add_f32 v[156:157], v[92:93], v[154:155] neg_lo:[0,1] neg_hi:[0,1]
	v_mov_b32_e32 v79, v16
	v_mov_b32_e32 v156, v26
	v_pk_add_f32 v[78:79], v[78:79], v[140:141] neg_lo:[0,1] neg_hi:[0,1]
	v_mul_f32_e32 v26, 0xbf7ba420, v54
	v_pk_add_f32 v[80:81], v[80:81], v[142:143] neg_lo:[0,1] neg_hi:[0,1]
	v_pk_add_f32 v[78:79], v[74:75], v[78:79]
	v_mov_b32_e32 v83, v26
	v_pk_add_f32 v[78:79], v[78:79], v[80:81]
	v_pk_add_f32 v[80:81], v[82:83], v[144:145] neg_lo:[0,1] neg_hi:[0,1]
	v_pk_add_f32 v[136:137], v[156:157], v[136:137]
	v_pk_add_f32 v[78:79], v[78:79], v[80:81]
	v_pk_add_f32 v[80:81], v[84:85], v[146:147] neg_lo:[0,1] neg_hi:[0,1]
	v_mov_b32_e32 v87, v34
	ds_write2_b32 v158, v136, v137 offset1:1
	v_pk_add_f32 v[78:79], v[78:79], v[80:81]
	v_pk_add_f32 v[80:81], v[86:87], v[148:149] neg_lo:[0,1] neg_hi:[0,1]
	v_mul_f32_e32 v151, 0xbeb8f4ab, v47
	v_mov_b32_e32 v89, v117
	v_mul_f32_e32 v136, 0x3dbcf732, v64
	v_pk_add_f32 v[78:79], v[78:79], v[80:81]
	v_pk_add_f32 v[80:81], v[88:89], v[150:151] neg_lo:[0,1] neg_hi:[0,1]
	v_mul_f32_e32 v153, 0xbf7ee86f, v49
	v_mov_b32_e32 v91, v136
	v_mul_f32_e32 v69, 0xbf59a7d5, v70
	v_pk_add_f32 v[78:79], v[78:79], v[80:81]
	v_pk_add_f32 v[80:81], v[90:91], v[152:153] neg_lo:[0,1] neg_hi:[0,1]
	v_mul_f32_e32 v155, 0xbf06c442, v68
	v_mov_b32_e32 v93, v69
	v_pk_add_f32 v[78:79], v[78:79], v[80:81]
	v_pk_add_f32 v[80:81], v[92:93], v[154:155] neg_lo:[0,1] neg_hi:[0,1]
	s_mov_b32 s63, s11
	v_pk_add_f32 v[78:79], v[78:79], v[80:81]
	ds_write2_b32 v158, v78, v79 offset0:2 offset1:3
	v_pk_mul_f32 v[78:79], v[94:95], s[58:59]
	s_mov_b32 s58, s12
	s_mov_b32 s59, s14
	v_pk_mul_f32 v[80:81], v[96:97], s[58:59]
	v_pk_fma_f32 v[82:83], v[72:73], s[60:61], v[78:79] neg_lo:[1,0,0] neg_hi:[1,0,0]
	v_pk_fma_f32 v[84:85], v[76:77], s[64:65], v[80:81] neg_lo:[1,0,0] neg_hi:[1,0,0]
	v_pk_add_f32 v[82:83], v[74:75], v[82:83]
	s_mov_b32 s58, s15
	s_mov_b32 s59, s2
	v_pk_add_f32 v[82:83], v[82:83], v[84:85]
	v_pk_mul_f32 v[84:85], v[114:115], s[58:59]
	s_mov_b32 s58, s34
	s_mov_b32 s59, s55
	v_pk_fma_f32 v[86:87], v[100:101], s[58:59], v[84:85] neg_lo:[1,0,0] neg_hi:[1,0,0]
	s_mov_b32 s66, s11
	v_pk_add_f32 v[82:83], v[82:83], v[86:87]
	v_pk_mul_f32 v[86:87], v[120:121], s[62:63]
	s_mov_b32 s62, s38
	s_mov_b32 s63, s27
	v_pk_fma_f32 v[88:89], v[102:103], s[62:63], v[86:87] neg_lo:[1,0,0] neg_hi:[1,0,0]
	;; [unrolled: 6-line block ×3, first 2 shown]
	s_mov_b32 s68, s14
	s_mov_b32 s69, s6
	v_pk_add_f32 v[82:83], v[82:83], v[90:91]
	v_pk_mul_f32 v[90:91], v[128:129], s[68:69]
	s_mov_b32 s68, s37
	s_mov_b32 s69, s50
	v_pk_fma_f32 v[92:93], v[106:107], s[68:69], v[90:91] neg_lo:[1,0,0] neg_hi:[1,0,0]
	s_mov_b32 s70, s10
	s_mov_b32 s71, s3
	v_pk_add_f32 v[82:83], v[82:83], v[92:93]
	v_pk_mul_f32 v[92:93], v[132:133], s[70:71]
	s_mov_b32 s70, s49
	s_mov_b32 s71, s23
	v_pk_fma_f32 v[94:95], v[108:109], s[70:71], v[92:93] neg_lo:[1,0,0] neg_hi:[1,0,0]
	s_mov_b32 s74, s2
	s_mov_b32 s75, s10
	v_pk_add_f32 v[82:83], v[82:83], v[94:95]
	s_mov_b32 s72, s55
	s_mov_b32 s73, s26
	v_pk_mul_f32 v[94:95], v[70:71], s[74:75]
	v_mul_f32_e32 v12, 0xbf7ba420, v58
	v_pk_fma_f32 v[96:97], v[110:111], s[72:73], v[94:95] neg_lo:[1,0,0] neg_hi:[1,0,0]
	v_mul_f32_e32 v14, 0xbe3c28d5, v41
	v_pk_add_f32 v[82:83], v[82:83], v[96:97]
	ds_write2_b32 v158, v82, v83 offset0:4 offset1:5
	v_pk_fma_f32 v[82:83], v[72:73], s[42:43], v[98:99] neg_lo:[1,0,0] neg_hi:[1,0,0]
	v_pk_fma_f32 v[96:97], v[76:77], s[44:45], v[112:113] neg_lo:[1,0,0] neg_hi:[1,0,0]
	v_pk_add_f32 v[82:83], v[74:75], v[82:83]
	s_nop 0
	v_pk_add_f32 v[82:83], v[82:83], v[96:97]
	v_pk_fma_f32 v[96:97], v[100:101], s[46:47], v[118:119] neg_lo:[1,0,0] neg_hi:[1,0,0]
	s_nop 0
	v_pk_add_f32 v[82:83], v[82:83], v[96:97]
	v_pk_fma_f32 v[96:97], v[102:103], s[48:49], v[122:123] neg_lo:[1,0,0] neg_hi:[1,0,0]
	;; [unrolled: 3-line block ×6, first 2 shown]
	s_nop 0
	v_pk_add_f32 v[82:83], v[82:83], v[96:97]
	ds_write2_b32 v158, v82, v83 offset0:6 offset1:7
	v_pk_add_f32 v[82:83], v[12:13], v[14:15] neg_lo:[0,1] neg_hi:[0,1]
	v_pk_add_f32 v[96:97], v[12:13], v[14:15]
	v_mul_f32_e32 v12, 0x3f6eb680, v56
	v_mul_f32_e32 v14, 0x3eb8f4ab, v39
	v_mov_b32_e32 v83, v96
	v_pk_add_f32 v[96:97], v[12:13], v[14:15] neg_lo:[0,1] neg_hi:[0,1]
	v_pk_add_f32 v[98:99], v[12:13], v[14:15]
	v_pk_add_f32 v[82:83], v[74:75], v[82:83]
	v_mov_b32_e32 v97, v98
	v_mul_f32_e32 v12, 0xbf59a7d5, v54
	v_mul_f32_e32 v14, 0xbf06c442, v37
	v_pk_add_f32 v[82:83], v[82:83], v[96:97]
	v_pk_add_f32 v[96:97], v[12:13], v[14:15] neg_lo:[0,1] neg_hi:[0,1]
	v_pk_add_f32 v[98:99], v[12:13], v[14:15]
	v_mul_f32_e32 v12, 0x3f3d2fb0, v52
	v_mov_b32_e32 v97, v98
	v_mul_f32_e32 v14, 0x3f2c7751, v33
	v_pk_add_f32 v[82:83], v[82:83], v[96:97]
	v_pk_add_f32 v[96:97], v[12:13], v[14:15] neg_lo:[0,1] neg_hi:[0,1]
	v_pk_add_f32 v[98:99], v[12:13], v[14:15]
	v_mul_f32_e32 v12, 0xbf1a4643, v60
	v_mov_b32_e32 v97, v98
	;; [unrolled: 6-line block ×5, first 2 shown]
	v_mul_f32_e32 v14, 0x3f7ee86f, v68
	v_pk_add_f32 v[82:83], v[82:83], v[96:97]
	v_fmamk_f32 v96, v68, 0xbf06c442, v69
	v_pk_add_f32 v[68:69], v[12:13], v[14:15] neg_lo:[0,1] neg_hi:[0,1]
	v_pk_add_f32 v[70:71], v[12:13], v[14:15]
	v_fmamk_f32 v12, v41, 0xbf65296c, v16
	v_mov_b32_e32 v69, v70
	v_pk_add_f32 v[68:69], v[82:83], v[68:69]
	ds_write2_b32 v158, v68, v69 offset0:8 offset1:9
	v_pk_fma_f32 v[68:69], v[72:73], s[60:61], v[78:79]
	v_pk_fma_f32 v[70:71], v[76:77], s[64:65], v[80:81]
	v_pk_add_f32 v[68:69], v[74:75], v[68:69]
	v_add_f32_e32 v12, v51, v12
	v_pk_add_f32 v[68:69], v[68:69], v[70:71]
	v_fmamk_f32 v14, v39, 0xbf4c4adb, v22
	v_pk_fma_f32 v[70:71], v[100:101], s[58:59], v[84:85]
	v_add_f32_e32 v12, v12, v14
	v_fmamk_f32 v14, v37, 0x3e3c28d5, v26
	v_pk_add_f32 v[68:69], v[68:69], v[70:71]
	v_pk_fma_f32 v[70:71], v[102:103], s[62:63], v[86:87]
	v_add_f32_e32 v12, v12, v14
	v_fmamk_f32 v14, v33, 0x3f763a35, v30
	v_pk_add_f32 v[68:69], v[68:69], v[70:71]
	;; [unrolled: 4-line block ×5, first 2 shown]
	v_pk_fma_f32 v[70:71], v[110:111], s[72:73], v[94:95]
	v_add_f32_e32 v12, v12, v14
	v_pk_add_f32 v[68:69], v[68:69], v[70:71]
	v_add_f32_e32 v14, v12, v96
	v_mov_b32_e32 v12, v69
	ds_write2_b32 v158, v69, v68 offset0:12 offset1:13
	ds_write_b32 v158, v14 offset:56
	ds_write2_b32 v158, v2, v3 offset0:15 offset1:16
.LBB0_13:
	s_or_b64 exec, exec, s[40:41]
	v_pk_mul_f32 v[114:115], v[40:41], s[22:23] op_sel_hi:[0,1]
	v_pk_add_f32 v[80:81], v[10:11], v[50:51] neg_lo:[0,1] neg_hi:[0,1]
	v_pk_fma_f32 v[50:51], v[58:59], s[2:3], v[114:115] op_sel:[1,0,0] neg_lo:[0,0,1] neg_hi:[0,0,1]
	v_pk_mul_f32 v[112:113], v[38:39], s[24:25] op_sel_hi:[0,1]
	v_pk_add_f32 v[78:79], v[66:67], v[42:43]
	v_pk_add_f32 v[50:51], v[42:43], v[50:51] op_sel:[1,0]
	v_pk_fma_f32 v[66:67], v[56:57], s[6:7], v[112:113] op_sel:[1,0,0] neg_lo:[0,0,1] neg_hi:[0,0,1]
	v_pk_mul_f32 v[110:111], v[36:37], s[26:27] op_sel_hi:[0,1]
	v_pk_add_f32 v[50:51], v[50:51], v[66:67]
	v_pk_fma_f32 v[66:67], v[54:55], s[10:11], v[110:111] op_sel:[1,0,0] neg_lo:[0,0,1] neg_hi:[0,0,1]
	v_pk_mul_f32 v[108:109], v[32:33], s[28:29] op_sel_hi:[0,1]
	v_pk_add_f32 v[50:51], v[50:51], v[66:67]
	;; [unrolled: 3-line block ×5, first 2 shown]
	v_pk_fma_f32 v[66:67], v[64:65], s[18:19], v[102:103] op_sel:[1,0,0] neg_lo:[0,0,1] neg_hi:[0,0,1]
	v_pk_mul_f32 v[100:101], v[80:81], s[38:39] op_sel_hi:[0,1]
	v_lshl_add_u32 v117, v116, 2, 0
	v_add_u32_e32 v129, 0x132, v116
	v_pk_add_f32 v[50:51], v[50:51], v[66:67]
	v_pk_fma_f32 v[66:67], v[78:79], s[20:21], v[100:101] op_sel_hi:[0,1,1] neg_lo:[0,0,1] neg_hi:[0,0,1]
	v_add_u32_e32 v126, 0x400, v117
	v_add_u32_e32 v121, 0xe00, v117
	;; [unrolled: 1-line block ×5, first 2 shown]
	v_lshl_add_u32 v119, v129, 2, 0
	v_add_u32_e32 v128, 0xc00, v117
	v_pk_add_f32 v[50:51], v[50:51], v[66:67]
	s_waitcnt lgkmcnt(0)
	s_barrier
	ds_read2_b32 v[66:67], v117 offset1:102
	ds_read2_b32 v[68:69], v126 offset0:152 offset1:254
	ds_read2_b32 v[72:73], v121 offset0:124 offset1:226
	;; [unrolled: 1-line block ×3, first 2 shown]
	v_lshl_add_u32 v118, v120, 2, 0
	ds_read2_b32 v[74:75], v122 offset0:72 offset1:174
	ds_read_b32 v123, v119
	ds_read2_b32 v[76:77], v128 offset0:48 offset1:150
	ds_read_b32 v124, v118
	ds_read_b32 v125, v117 offset:5712
	s_movk_i32 s33, 0xcc
	s_waitcnt lgkmcnt(0)
	s_barrier
	s_and_saveexec_b64 s[22:23], s[0:1]
	s_cbranch_execz .LBB0_15
; %bb.14:
	v_pk_add_f32 v[4:5], v[42:43], v[4:5]
	v_pk_mul_f32 v[130:131], v[58:59], s[2:3] op_sel:[1,0]
	v_pk_add_f32 v[4:5], v[4:5], v[6:7]
	s_mov_b32 s2, 0x3f6eb680
	v_pk_add_f32 v[4:5], v[4:5], v[8:9]
	s_mov_b32 s3, 0x3ee437d1
	v_pk_add_f32 v[4:5], v[4:5], v[18:19]
	v_mul_f32_e32 v9, 0xbf65296c, v40
	v_pk_add_f32 v[4:5], v[4:5], v[20:21]
	v_pk_mul_f32 v[132:133], v[56:57], s[6:7] op_sel:[1,0]
	v_pk_add_f32 v[4:5], v[4:5], v[24:25]
	s_mov_b32 s6, 0xbf1a4643
	v_pk_add_f32 v[4:5], v[4:5], v[28:29]
	v_mul_f32_e32 v21, 0xbf4c4adb, v38
	v_fma_f32 v4, v59, s3, -v9
	v_add_f32_e32 v8, v43, v4
	s_mov_b32 s0, 0xbf7ba420
	v_fma_f32 v10, v57, s6, -v21
	v_mul_f32_e32 v29, 0x3e3c28d5, v36
	v_pk_mul_f32 v[134:135], v[54:55], s[10:11] op_sel:[1,0]
	v_add_f32_e32 v10, v8, v10
	v_fma_f32 v14, v55, s0, -v29
	s_mov_b32 s11, 0xbe8c1d8e
	v_mul_f32_e32 v148, 0x3f763a35, v32
	v_pk_mul_f32 v[140:141], v[62:63], s[16:17] op_sel:[1,0]
	v_add_f32_e32 v16, v10, v14
	v_fma_f32 v18, v53, s11, -v148
	s_mov_b32 s17, 0x3f3d2fb0
	v_mul_f32_e32 v150, 0x3f2c7751, v44
	v_add_f32_e32 v16, v16, v18
	v_fma_f32 v18, v61, s17, -v150
	v_mul_f32_e32 v152, 0xbeb8f4ab, v46
	v_add_f32_e32 v16, v16, v18
	v_fma_f32 v24, v63, s2, -v152
	s_mov_b32 s10, 0x3dbcf732
	v_mul_f32_e32 v154, 0xbf7ee86f, v48
	v_add_f32_e32 v24, v16, v24
	v_fma_f32 v30, v65, s10, -v154
	v_mov_b32_e32 v96, v65
	v_mov_b32_e32 v97, v65
	v_pk_mul_f32 v[142:143], v[64:65], s[18:19] op_sel:[1,0]
	v_mul_f32_e32 v153, 0x3dbcf732, v65
	v_add_f32_e32 v155, v24, v30
	v_mul_f32_e32 v24, 0xbe8c1d8e, v65
	v_mov_b32_e32 v64, v5
	v_mov_b32_e32 v65, v131
	;; [unrolled: 1-line block ×6, first 2 shown]
	v_pk_mul_f32 v[136:137], v[52:53], s[12:13] op_sel:[1,0]
	v_pk_mul_f32 v[144:145], v[78:79], s[20:21] op_sel_hi:[0,1]
	v_mul_f32_e32 v79, 0xbe8c1d8e, v53
	v_mul_f32_e32 v20, 0x3f3d2fb0, v53
	v_pk_add_f32 v[52:53], v[132:133], v[112:113]
	v_pk_add_f32 v[64:65], v[64:65], v[146:147]
	v_mov_b32_e32 v82, v43
	v_mov_b32_e32 v83, v43
	v_mov_b32_e32 v88, v55
	v_mov_b32_e32 v89, v55
	v_mul_f32_e32 v25, 0xbf7ba420, v55
	v_mul_f32_e32 v10, 0xbf59a7d5, v55
	v_pk_add_f32 v[54:55], v[134:135], v[110:111]
	v_pk_add_f32 v[42:43], v[64:65], v[42:43]
	v_mov_b32_e32 v52, v15
	v_mov_b32_e32 v86, v57
	;; [unrolled: 1-line block ×3, first 2 shown]
	v_pk_mul_f32 v[138:139], v[60:61], s[14:15] op_sel:[1,0]
	v_mul_f32_e32 v19, 0xbf1a4643, v57
	v_mul_f32_e32 v8, 0x3f6eb680, v57
	v_pk_add_f32 v[56:57], v[136:137], v[108:109]
	v_pk_add_f32 v[42:43], v[52:53], v[42:43]
	v_mov_b32_e32 v54, v13
	v_mov_b32_e32 v84, v59
	v_mov_b32_e32 v85, v59
	v_mul_f32_e32 v7, 0x3ee437d1, v59
	v_mul_f32_e32 v4, 0xbf7ba420, v59
	v_pk_add_f32 v[58:59], v[138:139], v[106:107]
	v_pk_add_f32 v[42:43], v[54:55], v[42:43]
	v_mov_b32_e32 v56, v35
	v_mov_b32_e32 v92, v61
	v_mov_b32_e32 v93, v61
	;; [unrolled: 7-line block ×3, first 2 shown]
	v_mul_f32_e32 v151, 0x3f6eb680, v63
	v_mul_f32_e32 v16, 0x3ee437d1, v63
	v_pk_add_f32 v[62:63], v[142:143], v[102:103]
	v_pk_add_f32 v[34:35], v[58:59], v[34:35]
	v_mov_b32_e32 v60, v23
	v_pk_add_f32 v[34:35], v[60:61], v[34:35]
	v_mov_b32_e32 v62, v17
	v_pk_add_f32 v[42:43], v[144:145], v[100:101]
	v_pk_add_f32 v[34:35], v[62:63], v[34:35]
	v_mov_b32_e32 v42, v27
	v_mov_b32_e32 v131, v7
	;; [unrolled: 1-line block ×3, first 2 shown]
	v_pk_add_f32 v[34:35], v[42:43], v[34:35]
	v_pk_add_f32 v[42:43], v[130:131], v[114:115]
	v_mov_b32_e32 v133, v19
	v_mov_b32_e32 v113, v21
	v_pk_add_f32 v[42:43], v[82:83], v[42:43]
	v_pk_add_f32 v[52:53], v[132:133], v[112:113]
	v_mov_b32_e32 v135, v25
	v_mov_b32_e32 v111, v29
	;; [unrolled: 4-line block ×6, first 2 shown]
	v_mul_f32_e32 v145, 0xbf59a7d5, v78
	v_mul_f32_e32 v101, 0xbf06c442, v80
	v_pk_add_f32 v[42:43], v[42:43], v[52:53]
	v_pk_add_f32 v[52:53], v[142:143], v[102:103]
	v_mov_b32_e32 v41, v40
	s_mov_b32 s25, 0xbf763a35
	v_pk_add_f32 v[42:43], v[42:43], v[52:53]
	v_pk_add_f32 v[52:53], v[144:145], v[100:101]
	v_mov_b32_e32 v39, v38
	s_mov_b32 s12, 0xbe3c28d5
	v_pk_add_f32 v[42:43], v[42:43], v[52:53]
	v_pk_mul_f32 v[52:53], v[40:41], s[24:25]
	s_mov_b32 s13, 0x3f06c442
	s_mov_b32 s1, 0xbf59a7d5
	;; [unrolled: 1-line block ×3, first 2 shown]
	v_pk_fma_f32 v[54:55], v[84:85], s[10:11], v[52:53]
	v_pk_mul_f32 v[56:57], v[38:39], s[12:13]
	v_mov_b32_e32 v37, v36
	s_mov_b32 s15, 0x3f2c7751
	v_pk_add_f32 v[54:55], v[82:83], v[54:55]
	v_pk_fma_f32 v[58:59], v[86:87], s[0:1], v[56:57]
	s_mov_b32 s30, 0x3eb8f4ab
	v_pk_add_f32 v[54:55], v[54:55], v[58:59]
	s_mov_b32 s16, s11
	v_pk_mul_f32 v[58:59], v[36:37], s[14:15]
	v_mov_b32_e32 v33, v32
	s_mov_b32 s31, 0xbf65296c
	v_pk_fma_f32 v[60:61], v[88:89], s[16:17], v[58:59]
	v_mov_b32_e32 v45, v44
	v_pk_add_f32 v[54:55], v[54:55], v[60:61]
	v_pk_mul_f32 v[60:61], v[32:33], s[30:31]
	s_mov_b32 s30, s31
	v_pk_fma_f32 v[62:63], v[90:91], s[2:3], v[60:61]
	s_mov_b32 s31, s12
	s_mov_b32 s18, 0xbf06c442
	v_pk_add_f32 v[54:55], v[54:55], v[62:63]
	s_mov_b32 s34, s3
	s_mov_b32 s35, s0
	v_pk_mul_f32 v[62:63], v[44:45], s[30:31]
	v_pk_fma_f32 v[52:53], v[84:85], s[10:11], v[52:53] neg_lo:[0,0,1] neg_hi:[0,0,1]
	v_mov_b32_e32 v47, v46
	s_mov_b32 s19, 0x3f7ee86f
	v_pk_fma_f32 v[64:65], v[92:93], s[34:35], v[62:63]
	v_pk_add_f32 v[52:53], v[82:83], v[52:53]
	v_pk_fma_f32 v[56:57], v[86:87], s[0:1], v[56:57] neg_lo:[0,0,1] neg_hi:[0,0,1]
	v_pk_add_f32 v[54:55], v[54:55], v[64:65]
	s_mov_b32 s30, s1
	s_mov_b32 s31, s10
	v_pk_mul_f32 v[64:65], v[46:47], s[18:19]
	v_pk_add_f32 v[52:53], v[52:53], v[56:57]
	v_pk_fma_f32 v[56:57], v[88:89], s[16:17], v[58:59] neg_lo:[0,0,1] neg_hi:[0,0,1]
	v_mov_b32_e32 v49, v48
	s_mov_b32 s29, 0xbeb8f4ab
	v_fma_f32 v5, v78, s1, -v101
	v_pk_fma_f32 v[100:101], v[94:95], s[30:31], v[64:65]
	s_mov_b32 s28, 0x3f4c4adb
	v_pk_add_f32 v[52:53], v[52:53], v[56:57]
	v_pk_fma_f32 v[56:57], v[90:91], s[2:3], v[60:61] neg_lo:[0,0,1] neg_hi:[0,0,1]
	v_pk_add_f32 v[54:55], v[54:55], v[100:101]
	s_mov_b32 s7, s2
	v_pk_mul_f32 v[100:101], v[48:49], s[28:29]
	v_pk_add_f32 v[52:53], v[52:53], v[56:57]
	v_pk_fma_f32 v[56:57], v[92:93], s[34:35], v[62:63] neg_lo:[0,0,1] neg_hi:[0,0,1]
	v_mov_b32_e32 v81, v80
	s_mov_b32 s27, 0xbf4c4adb
	v_pk_fma_f32 v[102:103], v[96:97], s[6:7], v[100:101]
	s_mov_b32 s26, s15
	v_pk_add_f32 v[52:53], v[52:53], v[56:57]
	v_pk_fma_f32 v[56:57], v[94:95], s[30:31], v[64:65] neg_lo:[0,0,1] neg_hi:[0,0,1]
	v_mov_b32_e32 v98, v78
	v_mov_b32_e32 v99, v78
	v_pk_add_f32 v[54:55], v[54:55], v[102:103]
	s_mov_b32 s36, s17
	s_mov_b32 s37, s6
	v_pk_mul_f32 v[102:103], v[80:81], s[26:27]
	v_pk_add_f32 v[52:53], v[52:53], v[56:57]
	v_pk_fma_f32 v[56:57], v[96:97], s[6:7], v[100:101] neg_lo:[0,0,1] neg_hi:[0,0,1]
	s_mov_b32 s26, s27
	s_mov_b32 s27, s18
	v_mul_f32_e32 v6, 0xbe3c28d5, v40
	s_mov_b32 s21, 0x3f65296c
	v_pk_add_f32 v[52:53], v[52:53], v[56:57]
	v_pk_fma_f32 v[56:57], v[98:99], s[36:37], v[102:103] neg_lo:[0,0,1] neg_hi:[0,0,1]
	s_mov_b32 s7, s1
	v_pk_mul_f32 v[40:41], v[40:41], s[26:27]
	s_mov_b32 s20, s14
	v_mul_f32_e32 v12, 0x3eb8f4ab, v38
	v_pk_add_f32 v[52:53], v[52:53], v[56:57]
	v_pk_fma_f32 v[56:57], v[84:85], s[6:7], v[40:41]
	s_mov_b32 s26, s11
	s_mov_b32 s27, s3
	v_pk_mul_f32 v[38:39], v[38:39], s[20:21]
	v_pk_fma_f32 v[40:41], v[84:85], s[6:7], v[40:41] neg_lo:[0,0,1] neg_hi:[0,0,1]
	v_pk_fma_f32 v[58:59], v[86:87], s[26:27], v[38:39]
	v_pk_add_f32 v[40:41], v[82:83], v[40:41]
	v_pk_fma_f32 v[38:39], v[86:87], s[26:27], v[38:39] neg_lo:[0,0,1] neg_hi:[0,0,1]
	v_add_f32_e32 v11, v155, v5
	v_pk_add_f32 v[38:39], v[40:41], v[38:39]
	v_pk_add_f32 v[40:41], v[4:5], v[6:7]
	v_pk_add_f32 v[4:5], v[4:5], v[6:7] neg_lo:[0,1] neg_hi:[0,1]
	v_pk_add_f32 v[6:7], v[8:9], v[12:13]
	v_mov_b32_e32 v41, v4
	v_pk_add_f32 v[8:9], v[8:9], v[12:13] neg_lo:[0,1] neg_hi:[0,1]
	v_mul_f32_e32 v14, 0xbf06c442, v36
	v_pk_add_f32 v[4:5], v[82:83], v[40:41]
	v_mov_b32_e32 v7, v8
	s_mov_b32 s34, s29
	s_mov_b32 s35, s24
	v_pk_add_f32 v[4:5], v[4:5], v[6:7]
	v_pk_add_f32 v[6:7], v[10:11], v[14:15]
	v_pk_add_f32 v[8:9], v[10:11], v[14:15] neg_lo:[0,1] neg_hi:[0,1]
	v_mul_f32_e32 v28, 0x3f2c7751, v32
	v_pk_fma_f32 v[104:105], v[98:99], s[36:37], v[102:103]
	v_pk_add_f32 v[56:57], v[82:83], v[56:57]
	s_mov_b32 s30, s2
	v_pk_mul_f32 v[36:37], v[36:37], s[34:35]
	s_mov_b32 s36, s18
	s_mov_b32 s37, s28
	v_mov_b32_e32 v7, v8
	v_pk_add_f32 v[56:57], v[56:57], v[58:59]
	v_pk_fma_f32 v[58:59], v[88:89], s[30:31], v[36:37]
	s_mov_b32 s34, s1
	s_mov_b32 s35, s6
	v_pk_mul_f32 v[32:33], v[32:33], s[36:37]
	s_mov_b32 s28, s19
	v_pk_add_f32 v[4:5], v[4:5], v[6:7]
	v_pk_add_f32 v[6:7], v[20:21], v[28:29]
	v_pk_add_f32 v[8:9], v[20:21], v[28:29] neg_lo:[0,1] neg_hi:[0,1]
	v_mul_f32_e32 v22, 0xbf4c4adb, v44
	v_pk_add_f32 v[56:57], v[56:57], v[58:59]
	v_pk_fma_f32 v[58:59], v[90:91], s[34:35], v[32:33]
	s_mov_b32 s36, s10
	s_mov_b32 s37, s2
	v_pk_mul_f32 v[44:45], v[44:45], s[28:29]
	s_mov_b32 s28, 0xbf2c7751
	s_mov_b32 s29, s12
	v_pk_fma_f32 v[36:37], v[88:89], s[30:31], v[36:37] neg_lo:[0,0,1] neg_hi:[0,0,1]
	v_mov_b32_e32 v7, v8
	v_mul_f32_e32 v26, 0x3f65296c, v46
	v_pk_add_f32 v[56:57], v[56:57], v[58:59]
	v_pk_fma_f32 v[58:59], v[92:93], s[36:37], v[44:45]
	s_mov_b32 s18, s17
	s_mov_b32 s19, s0
	v_pk_mul_f32 v[46:47], v[46:47], s[28:29]
	s_mov_b32 s13, s15
	v_pk_add_f32 v[36:37], v[38:39], v[36:37]
	v_pk_fma_f32 v[32:33], v[90:91], s[34:35], v[32:33] neg_lo:[0,0,1] neg_hi:[0,0,1]
	v_pk_add_f32 v[4:5], v[4:5], v[6:7]
	v_pk_add_f32 v[6:7], v[18:19], v[22:23]
	v_pk_add_f32 v[8:9], v[18:19], v[22:23] neg_lo:[0,1] neg_hi:[0,1]
	v_mul_f32_e32 v30, 0xbf763a35, v48
	v_pk_add_f32 v[56:57], v[56:57], v[58:59]
	v_pk_fma_f32 v[58:59], v[94:95], s[18:19], v[46:47]
	s_mov_b32 s1, s17
	v_pk_mul_f32 v[48:49], v[48:49], s[12:13]
	v_pk_add_f32 v[32:33], v[36:37], v[32:33]
	v_pk_fma_f32 v[36:37], v[92:93], s[36:37], v[44:45] neg_lo:[0,0,1] neg_hi:[0,0,1]
	v_mov_b32_e32 v7, v8
	v_pk_add_f32 v[56:57], v[56:57], v[58:59]
	v_pk_fma_f32 v[58:59], v[96:97], s[0:1], v[48:49]
	s_mov_b32 s24, s21
	v_pk_add_f32 v[32:33], v[32:33], v[36:37]
	v_pk_fma_f32 v[36:37], v[94:95], s[18:19], v[46:47] neg_lo:[0,0,1] neg_hi:[0,0,1]
	v_pk_add_f32 v[4:5], v[4:5], v[6:7]
	v_pk_add_f32 v[6:7], v[16:17], v[26:27]
	v_pk_add_f32 v[8:9], v[16:17], v[26:27] neg_lo:[0,1] neg_hi:[0,1]
	v_pk_add_f32 v[56:57], v[56:57], v[58:59]
	s_mov_b32 s10, s3
	v_pk_mul_f32 v[58:59], v[80:81], s[24:25]
	v_pk_add_f32 v[32:33], v[32:33], v[36:37]
	v_pk_fma_f32 v[36:37], v[96:97], s[0:1], v[48:49] neg_lo:[0,0,1] neg_hi:[0,0,1]
	v_mov_b32_e32 v7, v8
	v_pk_add_f32 v[32:33], v[32:33], v[36:37]
	v_pk_fma_f32 v[36:37], v[98:99], s[10:11], v[58:59] neg_lo:[0,0,1] neg_hi:[0,0,1]
	v_pk_add_f32 v[4:5], v[4:5], v[6:7]
	v_pk_add_f32 v[6:7], v[24:25], v[30:31]
	v_pk_add_f32 v[8:9], v[24:25], v[30:31] neg_lo:[0,1] neg_hi:[0,1]
	v_pk_add_f32 v[32:33], v[32:33], v[36:37]
	v_mul_f32_e32 v36, 0x3dbcf732, v78
	v_mul_f32_e32 v38, 0x3f7ee86f, v80
	v_mov_b32_e32 v7, v8
	v_pk_add_f32 v[4:5], v[4:5], v[6:7]
	v_pk_add_f32 v[6:7], v[36:37], v[38:39]
	v_pk_add_f32 v[8:9], v[36:37], v[38:39] neg_lo:[0,1] neg_hi:[0,1]
	v_pk_fma_f32 v[60:61], v[98:99], s[10:11], v[58:59]
	v_mov_b32_e32 v7, v8
	v_pk_add_f32 v[4:5], v[4:5], v[6:7]
	v_lshl_add_u32 v6, v116, 6, v117
	v_pk_add_f32 v[54:55], v[54:55], v[104:105]
	v_pk_add_f32 v[56:57], v[56:57], v[60:61]
	ds_write2_b32 v6, v34, v35 offset1:1
	ds_write2_b32 v6, v42, v43 offset0:2 offset1:3
	ds_write2_b32 v6, v54, v55 offset0:4 offset1:5
	;; [unrolled: 1-line block ×6, first 2 shown]
	ds_write_b32 v6, v11 offset:56
	ds_write2_b32 v6, v50, v51 offset0:15 offset1:16
.LBB0_15:
	s_or_b64 exec, exec, s[22:23]
	s_movk_i32 s0, 0xf1
	v_add_u32_e32 v37, 0x66, v116
	v_mul_lo_u16_sdwa v4, v116, s0 dst_sel:DWORD dst_unused:UNUSED_PAD src0_sel:BYTE_0 src1_sel:DWORD
	v_lshrrev_b16_e32 v38, 12, v4
	v_mul_lo_u16_sdwa v5, v37, s0 dst_sel:DWORD dst_unused:UNUSED_PAD src0_sel:BYTE_0 src1_sel:DWORD
	v_mul_lo_u16_e32 v4, 17, v38
	v_lshrrev_b16_e32 v61, 12, v5
	v_sub_u16_e32 v60, v116, v4
	v_mov_b32_e32 v4, 4
	v_mul_lo_u16_e32 v5, 17, v61
	v_lshlrev_b32_sdwa v8, v4, v60 dst_sel:DWORD dst_unused:UNUSED_PAD src0_sel:DWORD src1_sel:BYTE_0
	v_sub_u16_e32 v62, v37, v5
	s_mov_b32 s0, 0xf0f1
	s_waitcnt lgkmcnt(0)
	s_barrier
	v_lshlrev_b32_sdwa v9, v4, v62 dst_sel:DWORD dst_unused:UNUSED_PAD src0_sel:DWORD src1_sel:BYTE_0
	global_load_dwordx4 v[4:7], v8, s[4:5]
	global_load_dwordx4 v[12:15], v9, s[4:5]
	v_mul_u32_u24_sdwa v8, v120, s0 dst_sel:DWORD dst_unused:UNUSED_PAD src0_sel:WORD_0 src1_sel:DWORD
	v_lshrrev_b32_e32 v63, 20, v8
	v_mul_lo_u16_e32 v8, 17, v63
	v_mul_u32_u24_sdwa v9, v129, s0 dst_sel:DWORD dst_unused:UNUSED_PAD src0_sel:WORD_0 src1_sel:DWORD
	v_sub_u16_e32 v64, v120, v8
	v_lshrrev_b32_e32 v65, 20, v9
	v_lshlrev_b32_e32 v8, 4, v64
	v_mul_lo_u16_e32 v9, 17, v65
	v_sub_u16_e32 v78, v129, v9
	global_load_dwordx4 v[16:19], v8, s[4:5]
	v_add_u32_e32 v36, 0x198, v116
	v_lshlrev_b32_e32 v8, 4, v78
	global_load_dwordx4 v[20:23], v8, s[4:5]
	v_mul_u32_u24_sdwa v8, v36, s0 dst_sel:DWORD dst_unused:UNUSED_PAD src0_sel:WORD_0 src1_sel:DWORD
	v_lshrrev_b32_e32 v79, 20, v8
	v_mul_lo_u16_e32 v8, 17, v79
	v_sub_u16_e32 v80, v36, v8
	v_lshlrev_b32_e32 v8, 4, v80
	global_load_dwordx4 v[28:31], v8, s[4:5]
	ds_read2_b32 v[10:11], v117 offset1:102
	ds_read2_b32 v[8:9], v126 offset0:152 offset1:254
	ds_read2_b32 v[32:33], v121 offset0:124 offset1:226
	;; [unrolled: 1-line block ×4, first 2 shown]
	ds_read_b32 v34, v119
	ds_read2_b32 v[58:59], v128 offset0:48 offset1:150
	ds_read_b32 v35, v118
	ds_read_b32 v81, v117 offset:5712
	s_mov_b32 s0, 0x5040100
	s_waitcnt lgkmcnt(0)
	s_barrier
	s_waitcnt vmcnt(4)
	v_mul_f32_e32 v47, v9, v5
	v_mul_f32_e32 v45, v69, v5
	v_mul_f32_e32 v5, v32, v7
	v_mul_f32_e32 v46, v72, v7
	v_fma_f32 v54, v69, v4, -v47
	v_fma_f32 v55, v72, v6, -v5
	s_waitcnt vmcnt(3)
	v_mul_f32_e32 v7, v48, v13
	v_mul_f32_e32 v43, v70, v13
	v_mul_f32_e32 v13, v33, v15
	v_mul_f32_e32 v44, v73, v15
	v_fmac_f32_e32 v45, v9, v4
	v_fmac_f32_e32 v46, v32, v6
	v_add_f32_e32 v4, v66, v54
	v_add_f32_e32 v5, v54, v55
	s_waitcnt vmcnt(2)
	v_mul_f32_e32 v15, v49, v17
	v_fma_f32 v52, v70, v12, -v7
	v_fmac_f32_e32 v43, v48, v12
	v_fma_f32 v53, v73, v14, -v13
	v_fmac_f32_e32 v44, v33, v14
	v_add_f32_e32 v12, v4, v55
	v_fma_f32 v14, -0.5, v5, v66
	v_sub_f32_e32 v4, v45, v46
	v_mul_f32_e32 v41, v71, v17
	v_fma_f32 v48, v71, v16, -v15
	v_fmamk_f32 v15, v4, 0x3f5db3d7, v14
	v_fmac_f32_e32 v14, 0xbf5db3d7, v4
	v_add_f32_e32 v4, v67, v52
	v_fmac_f32_e32 v41, v49, v16
	v_add_f32_e32 v16, v4, v53
	v_add_f32_e32 v4, v52, v53
	v_mul_f32_e32 v17, v56, v19
	v_fmac_f32_e32 v67, -0.5, v4
	v_sub_f32_e32 v4, v43, v44
	v_mul_f32_e32 v42, v74, v19
	v_fma_f32 v49, v74, v18, -v17
	v_fmamk_f32 v17, v4, 0x3f5db3d7, v67
	v_fmac_f32_e32 v67, 0xbf5db3d7, v4
	v_add_f32_e32 v4, v124, v48
	s_waitcnt vmcnt(1)
	v_mul_f32_e32 v19, v58, v21
	v_fmac_f32_e32 v42, v56, v18
	v_add_f32_e32 v18, v4, v49
	v_add_f32_e32 v4, v48, v49
	v_mul_f32_e32 v39, v76, v21
	v_mul_f32_e32 v21, v57, v23
	v_fma_f32 v9, v76, v20, -v19
	v_fmac_f32_e32 v124, -0.5, v4
	v_sub_f32_e32 v4, v41, v42
	v_mul_f32_e32 v40, v75, v23
	s_waitcnt vmcnt(0)
	v_mul_f32_e32 v24, v77, v29
	v_mul_f32_e32 v26, v125, v31
	v_fma_f32 v47, v75, v22, -v21
	v_fmamk_f32 v19, v4, 0x3f5db3d7, v124
	v_fmac_f32_e32 v124, 0xbf5db3d7, v4
	v_add_f32_e32 v4, v123, v9
	v_mul_f32_e32 v25, v77, v28
	v_mul_f32_e32 v27, v59, v29
	;; [unrolled: 1-line block ×3, first 2 shown]
	v_fmac_f32_e32 v39, v58, v20
	v_fmac_f32_e32 v40, v57, v22
	v_fmac_f32_e32 v24, v59, v28
	v_fmac_f32_e32 v26, v81, v30
	v_add_f32_e32 v20, v4, v47
	v_add_f32_e32 v4, v9, v47
	v_fmac_f32_e32 v123, -0.5, v4
	v_sub_f32_e32 v4, v39, v40
	v_fma_f32 v29, v125, v30, -v23
	v_pk_add_f32 v[32:33], v[24:25], v[26:27] neg_lo:[0,1] neg_hi:[0,1]
	v_fmamk_f32 v21, v4, 0x3f5db3d7, v123
	v_fmac_f32_e32 v123, 0xbf5db3d7, v4
	v_add_f32_e32 v4, v33, v29
	v_mov_b32_e32 v28, v68
	v_mov_b32_e32 v30, 0x3f5db3d7
	;; [unrolled: 1-line block ×3, first 2 shown]
	v_fmac_f32_e32 v28, -0.5, v4
	v_pk_mul_f32 v[6:7], v[30:31], v[32:33]
	v_pk_add_f32 v[4:5], v[30:31], v[32:33]
	v_sub_f32_e32 v13, v28, v6
	v_mov_b32_e32 v7, v5
	v_pk_add_f32 v[4:5], v[6:7], v[28:29]
	v_mov_b32_e32 v7, 2
	v_mul_u32_u24_e32 v6, 0xcc, v38
	v_lshlrev_b32_sdwa v22, v7, v60 dst_sel:DWORD dst_unused:UNUSED_PAD src0_sel:DWORD src1_sel:BYTE_0
	v_add3_u32 v25, 0, v6, v22
	v_mul_u32_u24_e32 v6, 0xcc, v61
	v_lshlrev_b32_sdwa v7, v7, v62 dst_sel:DWORD dst_unused:UNUSED_PAD src0_sel:DWORD src1_sel:BYTE_0
	v_add3_u32 v27, 0, v6, v7
	v_perm_b32 v6, v65, v63, s0
	v_pk_mul_lo_u16 v6, v6, s33 op_sel_hi:[1,0]
	ds_write2_b32 v25, v12, v15 offset1:17
	ds_write_b32 v25, v14 offset:136
	v_and_b32_e32 v7, 0xfffc, v6
	v_lshlrev_b32_e32 v12, 2, v64
	v_add3_u32 v28, 0, v7, v12
	v_lshrrev_b32_e32 v6, 16, v6
	v_lshlrev_b32_e32 v7, 2, v78
	v_add3_u32 v32, 0, v6, v7
	v_mul_u32_u24_e32 v6, 0xcc, v79
	v_lshlrev_b32_e32 v7, 2, v80
	v_add3_u32 v56, 0, v6, v7
	v_add_u32_e32 v57, 0x200, v117
	v_add_u32_e32 v58, 0x600, v117
	v_add_u32_e32 v59, 0xa00, v117
	ds_write2_b32 v27, v16, v17 offset1:17
	ds_write_b32 v27, v67 offset:136
	ds_write2_b32 v28, v18, v19 offset1:17
	ds_write_b32 v28, v124 offset:136
	ds_write2_b32 v32, v20, v21 offset1:17
	ds_write_b32 v32, v123 offset:136
	ds_write2_b32 v56, v5, v4 offset1:17
	ds_write_b32 v56, v13 offset:136
	s_waitcnt lgkmcnt(0)
	s_barrier
	ds_read2_b32 v[6:7], v117 offset1:102
	ds_read2_b32 v[18:19], v57 offset0:127 offset1:229
	ds_read2_b32 v[20:21], v58 offset0:126 offset1:228
	;; [unrolled: 1-line block ×5, first 2 shown]
	v_cmp_gt_u32_e64 s[0:1], 51, v116
                                        ; implicit-def: $vgpr38
	s_and_saveexec_b64 s[2:3], s[0:1]
	s_cbranch_execz .LBB0_17
; %bb.16:
	v_add_u32_e32 v2, 0x72c, v117
	ds_read2_b32 v[12:13], v2 offset1:255
	v_add_u32_e32 v2, 0xf24, v117
	ds_read2_b32 v[2:3], v2 offset1:255
	ds_read_b32 v5, v118
	ds_read_b32 v38, v117 offset:5916
	s_waitcnt lgkmcnt(3)
	v_mov_b32_e32 v4, v12
.LBB0_17:
	s_or_b64 exec, exec, s[2:3]
	v_add_f32_e32 v31, v45, v46
	v_add_f32_e32 v12, v10, v45
	v_fma_f32 v10, -0.5, v31, v10
	v_sub_f32_e32 v31, v54, v55
	v_fmamk_f32 v45, v31, 0xbf5db3d7, v10
	v_fmac_f32_e32 v10, 0x3f5db3d7, v31
	v_add_f32_e32 v31, v11, v43
	v_add_f32_e32 v12, v12, v46
	;; [unrolled: 1-line block ×4, first 2 shown]
	v_fmac_f32_e32 v11, -0.5, v31
	v_sub_f32_e32 v31, v52, v53
	v_fmamk_f32 v44, v31, 0xbf5db3d7, v11
	v_fmac_f32_e32 v11, 0x3f5db3d7, v31
	v_add_f32_e32 v31, v35, v41
	v_add_f32_e32 v52, v31, v42
	;; [unrolled: 1-line block ×3, first 2 shown]
	v_fmac_f32_e32 v35, -0.5, v31
	v_sub_f32_e32 v31, v48, v49
	v_fmamk_f32 v48, v31, 0xbf5db3d7, v35
	v_fmac_f32_e32 v35, 0x3f5db3d7, v31
	v_add_f32_e32 v31, v34, v39
	v_add_f32_e32 v49, v31, v40
	;; [unrolled: 1-line block ×3, first 2 shown]
	v_fmac_f32_e32 v34, -0.5, v31
	v_sub_f32_e32 v9, v9, v47
	v_fmamk_f32 v39, v9, 0xbf5db3d7, v34
	v_fmac_f32_e32 v34, 0x3f5db3d7, v9
	v_add_f32_e32 v9, v24, v26
	v_mov_b32_e32 v40, v8
	v_sub_f32_e32 v42, v33, v29
	v_mov_b32_e32 v31, v8
	v_mov_b32_e32 v43, v24
	v_fmac_f32_e32 v40, -0.5, v9
	v_pk_mul_f32 v[8:9], v[30:31], v[42:43]
	v_pk_add_f32 v[30:31], v[30:31], v[42:43]
	v_mov_b32_e32 v41, v26
	v_mov_b32_e32 v9, v31
	v_sub_f32_e32 v24, v40, v8
	v_pk_add_f32 v[8:9], v[8:9], v[40:41]
	s_waitcnt lgkmcnt(0)
	s_barrier
	ds_write2_b32 v25, v12, v45 offset1:17
	ds_write_b32 v25, v10 offset:136
	ds_write2_b32 v27, v46, v44 offset1:17
	ds_write_b32 v27, v11 offset:136
	;; [unrolled: 2-line block ×5, first 2 shown]
	s_waitcnt lgkmcnt(0)
	s_barrier
	ds_read2_b32 v[10:11], v117 offset1:102
	ds_read2_b32 v[34:35], v57 offset0:127 offset1:229
	ds_read2_b32 v[32:33], v58 offset0:126 offset1:228
	;; [unrolled: 1-line block ×3, first 2 shown]
	v_add_u32_e32 v12, 0xe00, v117
	ds_read2_b32 v[28:29], v12 offset0:124 offset1:226
	v_add_u32_e32 v12, 0x1200, v117
	ds_read2_b32 v[30:31], v12 offset0:123 offset1:225
                                        ; implicit-def: $vgpr45
	s_and_saveexec_b64 s[2:3], s[0:1]
	s_cbranch_execz .LBB0_19
; %bb.18:
	v_add_u32_e32 v8, 0x72c, v117
	ds_read2_b32 v[24:25], v8 offset1:255
	v_add_u32_e32 v8, 0xf24, v117
	ds_read2_b32 v[50:51], v8 offset1:255
	ds_read_b32 v9, v118
	ds_read_b32 v45, v117 offset:5916
	s_waitcnt lgkmcnt(3)
	v_mov_b32_e32 v8, v25
.LBB0_19:
	s_or_b64 exec, exec, s[2:3]
	s_movk_i32 s2, 0xa1
	v_mul_lo_u16_sdwa v25, v37, s2 dst_sel:DWORD dst_unused:UNUSED_PAD src0_sel:BYTE_0 src1_sel:DWORD
	v_lshrrev_b16_e32 v79, 13, v25
	v_subrev_u32_e32 v12, 51, v116
	v_mul_lo_u16_e32 v25, 51, v79
	v_cndmask_b32_e64 v78, v12, v116, s[0:1]
	v_mov_b32_e32 v12, 5
	v_sub_u16_e32 v80, v37, v25
	v_mul_i32_i24_e32 v40, 5, v78
	v_mov_b32_e32 v41, 0
	v_mul_u32_u24_sdwa v12, v80, v12 dst_sel:DWORD dst_unused:UNUSED_PAD src0_sel:BYTE_0 src1_sel:DWORD
	s_mov_b32 s2, 0xa0a1
	v_lshl_add_u64 v[40:41], v[40:41], 3, s[4:5]
	v_lshlrev_b32_e32 v12, 3, v12
	v_mul_u32_u24_sdwa v25, v120, s2 dst_sel:DWORD dst_unused:UNUSED_PAD src0_sel:WORD_0 src1_sel:DWORD
	global_load_dwordx4 v[46:49], v[40:41], off offset:272
	global_load_dwordx4 v[52:55], v[40:41], off offset:288
	global_load_dwordx2 v[72:73], v[40:41], off offset:304
	global_load_dwordx4 v[56:59], v12, s[4:5] offset:272
	global_load_dwordx2 v[74:75], v12, s[4:5] offset:304
	global_load_dwordx4 v[60:63], v12, s[4:5] offset:288
	v_lshrrev_b32_e32 v12, 21, v25
	v_mul_lo_u16_e32 v12, 51, v12
	v_sub_u16_e32 v81, v120, v12
	v_mul_u32_u24_e32 v12, 5, v81
	v_lshlrev_b32_e32 v12, 3, v12
	global_load_dwordx4 v[64:67], v12, s[4:5] offset:272
	global_load_dwordx4 v[68:71], v12, s[4:5] offset:288
	global_load_dwordx2 v[76:77], v12, s[4:5] offset:304
	v_cmp_lt_u32_e64 s[2:3], 50, v116
	s_waitcnt lgkmcnt(0)
	s_barrier
	s_waitcnt vmcnt(8)
	v_mul_f32_e32 v12, v34, v47
	v_mul_f32_e32 v25, v18, v47
	;; [unrolled: 1-line block ×4, first 2 shown]
	s_waitcnt vmcnt(7)
	v_mul_f32_e32 v49, v28, v55
	s_waitcnt vmcnt(6)
	v_mul_f32_e32 v41, v14, v73
	v_mul_f32_e32 v47, v26, v53
	v_mul_f32_e32 v40, v22, v53
	v_mul_f32_e32 v53, v30, v73
	v_fma_f32 v39, v18, v46, -v12
	v_fmac_f32_e32 v25, v34, v46
	v_fma_f32 v34, v20, v48, -v44
	v_fma_f32 v44, v16, v54, -v49
	v_fmac_f32_e32 v41, v30, v72
	s_waitcnt vmcnt(5)
	v_mul_f32_e32 v49, v33, v59
	v_mul_f32_e32 v30, v21, v59
	s_waitcnt vmcnt(2)
	v_mul_f32_e32 v18, v13, v67
	s_waitcnt vmcnt(1)
	v_mul_f32_e32 v59, v50, v69
	v_mul_f32_e32 v43, v16, v55
	v_fmac_f32_e32 v42, v32, v48
	v_fma_f32 v46, v22, v52, -v47
	v_fma_f32 v47, v14, v72, -v53
	v_mul_f32_e32 v48, v35, v57
	v_mul_f32_e32 v14, v19, v57
	;; [unrolled: 1-line block ×5, first 2 shown]
	v_fmac_f32_e32 v18, v8, v66
	v_fma_f32 v8, v2, v68, -v59
	v_add_f32_e32 v2, v6, v34
	v_fmac_f32_e32 v43, v28, v54
	v_mul_f32_e32 v32, v17, v63
	v_mul_f32_e32 v55, v24, v65
	v_fmac_f32_e32 v12, v24, v64
	v_add_f32_e32 v24, v2, v44
	v_add_f32_e32 v2, v34, v44
	v_mul_f32_e32 v53, v29, v63
	v_mul_f32_e32 v28, v15, v75
	v_fmac_f32_e32 v32, v29, v62
	v_fma_f32 v29, -0.5, v2, v6
	v_sub_f32_e32 v2, v42, v43
	v_mul_f32_e32 v54, v31, v75
	v_fmac_f32_e32 v28, v31, v74
	v_fmamk_f32 v31, v2, 0x3f5db3d7, v29
	v_fmac_f32_e32 v29, 0xbf5db3d7, v2
	v_add_f32_e32 v2, v39, v46
	v_fmac_f32_e32 v40, v26, v52
	v_fmac_f32_e32 v14, v35, v56
	v_add_f32_e32 v35, v2, v47
	v_add_f32_e32 v2, v46, v47
	v_fmac_f32_e32 v39, -0.5, v2
	v_sub_f32_e32 v6, v40, v41
	v_mul_f32_e32 v52, v27, v61
	s_waitcnt vmcnt(0)
	v_mul_f32_e32 v63, v45, v77
	v_fmamk_f32 v2, v6, 0x3f5db3d7, v39
	v_fmac_f32_e32 v39, 0xbf5db3d7, v6
	v_add_f32_e32 v6, v40, v41
	v_mul_f32_e32 v22, v23, v61
	v_mul_f32_e32 v20, v38, v77
	v_fmac_f32_e32 v30, v33, v58
	v_fma_f32 v33, v23, v60, -v52
	v_fma_f32 v23, v38, v76, -v63
	v_fma_f32 v6, -0.5, v6, v25
	v_sub_f32_e32 v38, v46, v47
	v_fma_f32 v21, v21, v58, -v49
	v_fmac_f32_e32 v22, v27, v60
	v_fma_f32 v27, v15, v74, -v54
	v_fmamk_f32 v15, v38, 0xbf5db3d7, v6
	v_fmac_f32_e32 v6, 0x3f5db3d7, v38
	v_mul_f32_e32 v46, -0.5, v39
	v_mul_f32_e32 v26, v3, v71
	v_fma_f32 v17, v17, v62, -v53
	v_fmac_f32_e32 v20, v45, v76
	v_add_f32_e32 v45, v24, v35
	v_fmac_f32_e32 v46, 0x3f5db3d7, v6
	v_sub_f32_e32 v35, v24, v35
	v_add_f32_e32 v24, v7, v21
	v_mul_f32_e32 v61, v51, v71
	v_fmac_f32_e32 v26, v51, v70
	v_mul_f32_e32 v38, 0x3f5db3d7, v15
	v_add_f32_e32 v49, v29, v46
	v_sub_f32_e32 v51, v29, v46
	v_add_f32_e32 v29, v24, v17
	v_add_f32_e32 v24, v21, v17
	v_fma_f32 v19, v19, v56, -v48
	v_fmac_f32_e32 v38, 0.5, v2
	v_fmac_f32_e32 v7, -0.5, v24
	v_sub_f32_e32 v24, v30, v32
	v_fmac_f32_e32 v16, v50, v68
	v_add_f32_e32 v48, v31, v38
	v_sub_f32_e32 v50, v31, v38
	v_fmamk_f32 v31, v24, 0x3f5db3d7, v7
	v_fmac_f32_e32 v7, 0xbf5db3d7, v24
	v_add_f32_e32 v24, v19, v33
	v_add_f32_e32 v38, v24, v27
	v_add_f32_e32 v24, v33, v27
	v_fmac_f32_e32 v19, -0.5, v24
	v_sub_f32_e32 v46, v22, v28
	v_fmamk_f32 v24, v46, 0x3f5db3d7, v19
	v_fmac_f32_e32 v19, 0xbf5db3d7, v46
	v_add_f32_e32 v46, v22, v28
	v_fma_f32 v46, -0.5, v46, v14
	v_sub_f32_e32 v27, v33, v27
	v_fmamk_f32 v47, v27, 0xbf5db3d7, v46
	v_fmac_f32_e32 v46, 0x3f5db3d7, v27
	v_mul_f32_e32 v27, 0x3f5db3d7, v47
	v_fmac_f32_e32 v27, 0.5, v24
	v_fma_f32 v4, v4, v64, -v55
	v_add_f32_e32 v53, v31, v27
	v_sub_f32_e32 v56, v31, v27
	v_add_f32_e32 v27, v8, v23
	v_fma_f32 v27, -0.5, v27, v4
	v_sub_f32_e32 v31, v16, v20
	v_add_f32_e32 v52, v29, v38
	v_mul_f32_e32 v33, -0.5, v19
	v_sub_f32_e32 v55, v29, v38
	v_fmamk_f32 v29, v31, 0x3f5db3d7, v27
	v_fmac_f32_e32 v27, 0xbf5db3d7, v31
	v_add_f32_e32 v31, v16, v20
	v_fmac_f32_e32 v33, 0x3f5db3d7, v46
	v_fma_f32 v31, -0.5, v31, v12
	v_sub_f32_e32 v38, v8, v23
	v_add_f32_e32 v54, v7, v33
	v_sub_f32_e32 v7, v7, v33
	v_fmamk_f32 v33, v38, 0xbf5db3d7, v31
	v_fmac_f32_e32 v31, 0x3f5db3d7, v38
	v_mov_b32_e32 v38, 0x4c8
	v_fma_f32 v13, v13, v66, -v57
	v_cndmask_b32_e64 v38, 0, v38, s[2:3]
	v_lshlrev_b32_e32 v57, 2, v78
	v_add3_u32 v38, 0, v38, v57
	ds_write2_b32 v38, v45, v48 offset1:51
	ds_write2_b32 v38, v49, v35 offset0:102 offset1:153
	ds_write2_b32 v38, v50, v51 offset0:204 offset1:255
	v_mov_b32_e32 v45, 2
	v_mul_u32_u24_e32 v35, 0x4c8, v79
	v_lshlrev_b32_sdwa v45, v45, v80 dst_sel:DWORD dst_unused:UNUSED_PAD src0_sel:DWORD src1_sel:BYTE_0
	v_fma_f32 v3, v3, v70, -v61
	v_add3_u32 v45, 0, v35, v45
	v_lshl_add_u32 v35, v81, 2, 0
	ds_write2_b32 v45, v52, v53 offset1:51
	ds_write2_b32 v45, v54, v55 offset0:102 offset1:153
	ds_write2_b32 v45, v56, v7 offset0:204 offset1:255
	s_and_saveexec_b64 s[2:3], s[0:1]
	s_cbranch_execz .LBB0_21
; %bb.20:
	v_add_f32_e32 v7, v13, v3
	v_fma_f32 v7, -0.5, v7, v5
	v_sub_f32_e32 v48, v18, v26
	v_fmamk_f32 v49, v48, 0xbf5db3d7, v7
	v_fmac_f32_e32 v7, 0x3f5db3d7, v48
	v_mul_f32_e32 v48, 0x3f5db3d7, v33
	v_add_f32_e32 v5, v5, v13
	v_add_f32_e32 v4, v4, v8
	v_mul_f32_e32 v50, -0.5, v27
	v_fmac_f32_e32 v48, 0.5, v29
	v_add_f32_e32 v5, v5, v3
	v_add_f32_e32 v4, v4, v23
	v_fmac_f32_e32 v50, 0x3f5db3d7, v31
	v_sub_f32_e32 v52, v7, v48
	v_sub_f32_e32 v8, v5, v4
	v_add_f32_e32 v7, v7, v48
	v_add_f32_e32 v4, v5, v4
	v_add_u32_e32 v5, 0x1000, v35
	v_add_f32_e32 v23, v49, v50
	ds_write2_b32 v5, v4, v7 offset0:200 offset1:251
	v_add_u32_e32 v4, 0x1400, v35
	v_sub_f32_e32 v51, v49, v50
	ds_write2_b32 v4, v23, v8 offset0:46 offset1:97
	ds_write2_b32 v4, v52, v51 offset0:148 offset1:199
.LBB0_21:
	s_or_b64 exec, exec, s[2:3]
	v_add_f32_e32 v5, v42, v43
	v_fma_f32 v5, -0.5, v5, v10
	v_sub_f32_e32 v7, v34, v44
	v_add_f32_e32 v4, v10, v42
	v_fmamk_f32 v8, v7, 0xbf5db3d7, v5
	v_fmac_f32_e32 v5, 0x3f5db3d7, v7
	v_add_f32_e32 v7, v25, v40
	v_add_f32_e32 v4, v4, v43
	;; [unrolled: 1-line block ×3, first 2 shown]
	v_mul_f32_e32 v2, 0xbf5db3d7, v2
	v_add_f32_e32 v34, v4, v7
	v_fmac_f32_e32 v2, 0.5, v15
	v_mul_f32_e32 v6, -0.5, v6
	v_sub_f32_e32 v41, v4, v7
	v_add_f32_e32 v4, v30, v32
	v_add_f32_e32 v40, v8, v2
	v_fmac_f32_e32 v6, 0xbf5db3d7, v39
	v_sub_f32_e32 v42, v8, v2
	v_add_f32_e32 v2, v11, v30
	v_fmac_f32_e32 v11, -0.5, v4
	v_sub_f32_e32 v4, v21, v17
	v_add_f32_e32 v39, v5, v6
	v_sub_f32_e32 v43, v5, v6
	v_fmamk_f32 v5, v4, 0xbf5db3d7, v11
	v_fmac_f32_e32 v11, 0x3f5db3d7, v4
	v_add_f32_e32 v4, v14, v22
	v_add_f32_e32 v2, v2, v32
	;; [unrolled: 1-line block ×4, first 2 shown]
	v_mul_f32_e32 v6, 0xbf5db3d7, v24
	v_mul_f32_e32 v7, -0.5, v46
	v_sub_f32_e32 v28, v2, v4
	v_add_u32_e32 v2, 0x800, v117
	v_fmac_f32_e32 v6, 0.5, v47
	v_fmac_f32_e32 v7, 0xbf5db3d7, v19
	s_waitcnt lgkmcnt(0)
	s_barrier
	ds_read2_b32 v[24:25], v2 offset0:100 offset1:202
	v_add_u32_e32 v2, 0xc00, v117
	v_add_f32_e32 v21, v5, v6
	v_add_f32_e32 v19, v11, v7
	v_sub_f32_e32 v32, v5, v6
	v_sub_f32_e32 v44, v11, v7
	ds_read2_b32 v[6:7], v2 offset0:48 offset1:150
	v_add_u32_e32 v2, 0x1200, v117
	ds_read2_b32 v[22:23], v2 offset0:72 offset1:174
	v_add_u32_e32 v2, 0x400, v117
	;; [unrolled: 2-line block ×3, first 2 shown]
	ds_read2_b32 v[14:15], v117 offset1:102
	ds_read2_b32 v[4:5], v2 offset0:124 offset1:226
	ds_read_b32 v30, v119
	ds_read_b32 v2, v118
	ds_read_b32 v8, v117 offset:5712
	s_waitcnt lgkmcnt(0)
	s_barrier
	ds_write2_b32 v38, v34, v40 offset1:51
	ds_write2_b32 v38, v39, v41 offset0:102 offset1:153
	ds_write2_b32 v38, v42, v43 offset0:204 offset1:255
	ds_write2_b32 v45, v17, v21 offset1:51
	ds_write2_b32 v45, v19, v28 offset0:102 offset1:153
	ds_write2_b32 v45, v32, v44 offset0:204 offset1:255
	s_and_saveexec_b64 s[2:3], s[0:1]
	s_cbranch_execz .LBB0_23
; %bb.22:
	v_add_f32_e32 v17, v9, v18
	v_add_f32_e32 v18, v18, v26
	v_fmac_f32_e32 v9, -0.5, v18
	v_sub_f32_e32 v3, v13, v3
	v_fmamk_f32 v13, v3, 0xbf5db3d7, v9
	v_fmamk_f32 v3, v3, 0x3f5db3d7, v9
	v_add_f32_e32 v9, v12, v16
	v_mul_f32_e32 v16, 0xbf5db3d7, v29
	v_add_f32_e32 v17, v17, v26
	v_add_f32_e32 v9, v9, v20
	v_fmac_f32_e32 v16, 0.5, v33
	v_mul_f32_e32 v19, -0.5, v31
	v_add_f32_e32 v12, v17, v9
	v_add_f32_e32 v18, v13, v16
	v_fmac_f32_e32 v19, 0xbf5db3d7, v27
	v_sub_f32_e32 v13, v13, v16
	v_add_u32_e32 v16, 0x1000, v35
	v_add_f32_e32 v20, v3, v19
	v_sub_f32_e32 v9, v17, v9
	ds_write2_b32 v16, v12, v18 offset0:200 offset1:251
	v_add_u32_e32 v12, 0x1400, v35
	v_sub_f32_e32 v3, v3, v19
	ds_write2_b32 v12, v20, v9 offset0:46 offset1:97
	ds_write2_b32 v12, v13, v3 offset0:148 offset1:199
.LBB0_23:
	s_or_b64 exec, exec, s[2:3]
	s_waitcnt lgkmcnt(0)
	s_barrier
	s_and_saveexec_b64 s[0:1], vcc
	s_cbranch_execz .LBB0_25
; %bb.24:
	v_lshlrev_b32_e32 v12, 2, v120
	v_mov_b32_e32 v13, 0
	v_lshl_add_u64 v[16:17], v[12:13], 3, s[4:5]
	v_lshlrev_b32_e32 v12, 2, v37
	v_lshl_add_u64 v[42:43], v[12:13], 3, s[4:5]
	v_lshlrev_b32_e32 v12, 2, v116
	v_lshl_add_u64 v[12:13], v[12:13], 3, s[4:5]
	global_load_dwordx4 v[32:35], v[12:13], off offset:2312
	global_load_dwordx4 v[38:41], v[12:13], off offset:2328
	v_mad_u64_u32 v[46:47], s[0:1], s8, v116, 0
	v_add_u32_e32 v49, 0x132, v116
	v_add_u32_e32 v51, 0x264, v116
	;; [unrolled: 1-line block ×6, first 2 shown]
	ds_read2_b32 v[28:29], v117 offset1:102
	ds_read_b32 v12, v117 offset:5712
	ds_read_b32 v3, v118
	ds_read_b32 v44, v119
	v_mov_b32_e32 v56, v47
	v_mad_u64_u32 v[58:59], s[2:3], s8, v49, 0
	v_mad_u64_u32 v[60:61], s[2:3], s8, v51, 0
	;; [unrolled: 1-line block ×4, first 2 shown]
	v_add_u32_e32 v13, 0x400, v117
	v_add_u32_e32 v31, 0x800, v117
	;; [unrolled: 1-line block ×3, first 2 shown]
	ds_read2_b32 v[20:21], v9 offset0:48 offset1:150
	ds_read2_b32 v[26:27], v13 offset0:152 offset1:254
	;; [unrolled: 1-line block ×5, first 2 shown]
	v_mad_u64_u32 v[56:57], s[2:3], s9, v116, v[56:57]
	v_mov_b32_e32 v66, v59
	v_mov_b32_e32 v68, v61
	;; [unrolled: 1-line block ×5, first 2 shown]
	v_mad_u64_u32 v[56:57], s[2:3], s9, v49, v[66:67]
	v_mad_u64_u32 v[66:67], s[2:3], s9, v51, v[68:69]
	;; [unrolled: 1-line block ×4, first 2 shown]
	v_mov_b32_e32 v59, v56
	v_mov_b32_e32 v61, v66
	;; [unrolled: 1-line block ×4, first 2 shown]
	v_lshl_add_u64 v[56:57], v[58:59], 3, v[0:1]
	v_lshl_add_u64 v[58:59], v[60:61], 3, v[0:1]
	;; [unrolled: 1-line block ×4, first 2 shown]
	s_waitcnt lgkmcnt(4)
	v_mov_b32_e32 v64, v21
	v_mov_b32_e32 v48, v7
	;; [unrolled: 1-line block ×3, first 2 shown]
	s_mov_b32 s2, 0x3f737871
	s_mov_b32 s4, 0x3f167918
	s_movk_i32 s1, 0x4c8
	s_mov_b32 s0, 0x3e9e377a
	v_lshl_add_u64 v[46:47], v[46:47], 3, v[0:1]
	v_add_u32_e32 v7, 0x2ca, v116
	s_waitcnt vmcnt(1)
	v_mov_b32_e32 v66, v35
	v_mov_b32_e32 v67, v34
	s_waitcnt vmcnt(0)
	v_pk_mul_f32 v[64:65], v[64:65], v[38:39] op_sel:[0,1] op_sel_hi:[0,0]
	v_pk_mul_f32 v[44:45], v[44:45], v[32:33] op_sel:[0,1] op_sel_hi:[0,0]
	v_mov_b32_e32 v68, v41
	v_mov_b32_e32 v69, v40
	s_waitcnt lgkmcnt(1)
	v_pk_mul_f32 v[66:67], v[52:53], v[66:67] op_sel_hi:[0,1]
	v_pk_fma_f32 v[48:49], v[48:49], v[38:39], v[64:65] neg_lo:[0,0,1] neg_hi:[0,0,1]
	v_pk_fma_f32 v[38:39], v[50:51], v[38:39], v[64:65] op_sel_hi:[0,1,1]
	v_pk_fma_f32 v[50:51], v[30:31], v[32:33], v[44:45] neg_lo:[0,0,1] neg_hi:[0,0,1]
	v_pk_fma_f32 v[30:31], v[30:31], v[32:33], v[44:45] op_sel_hi:[0,1,1]
	s_waitcnt lgkmcnt(0)
	v_pk_mul_f32 v[32:33], v[54:55], v[68:69] op_sel_hi:[0,1]
	v_pk_fma_f32 v[44:45], v[24:25], v[34:35], v[66:67] neg_lo:[0,0,1] neg_hi:[0,0,1]
	v_pk_fma_f32 v[34:35], v[24:25], v[34:35], v[66:67] op_sel_hi:[0,1,1]
	v_mov_b32_e32 v51, v31
	v_pk_fma_f32 v[64:65], v[22:23], v[40:41], v[32:33] neg_lo:[0,0,1] neg_hi:[0,0,1]
	v_pk_fma_f32 v[30:31], v[22:23], v[40:41], v[32:33] op_sel_hi:[0,1,1]
	v_mov_b32_e32 v49, v39
	v_mov_b32_e32 v45, v35
	;; [unrolled: 1-line block ×3, first 2 shown]
	v_pk_add_f32 v[30:31], v[50:51], v[44:45] neg_lo:[0,1] neg_hi:[0,1]
	v_pk_add_f32 v[32:33], v[64:65], v[48:49] neg_lo:[0,1] neg_hi:[0,1]
	v_mov_b32_e32 v66, v14
	v_pk_add_f32 v[34:35], v[30:31], v[32:33]
	global_load_dwordx4 v[30:33], v[42:43], off offset:2328
	global_load_dwordx4 v[38:41], v[42:43], off offset:2312
	v_pk_add_f32 v[42:43], v[44:45], v[48:49]
	v_mov_b32_e32 v67, v28
	v_pk_fma_f32 v[42:43], v[42:43], 0.5, v[66:67] op_sel_hi:[1,0,1] neg_lo:[1,0,0] neg_hi:[1,0,0]
	v_pk_add_f32 v[68:69], v[50:51], v[64:65] neg_lo:[0,1] neg_hi:[0,1]
	v_pk_add_f32 v[72:73], v[44:45], v[48:49] neg_lo:[0,1] neg_hi:[0,1]
	v_pk_fma_f32 v[70:71], v[68:69], s[2:3], v[42:43] op_sel:[1,0,0] op_sel_hi:[0,0,1] neg_lo:[1,0,0] neg_hi:[1,0,0]
	v_pk_fma_f32 v[42:43], v[68:69], s[2:3], v[42:43] op_sel:[1,0,0] op_sel_hi:[0,0,1]
	v_pk_add_f32 v[76:77], v[66:67], v[50:51]
	v_pk_fma_f32 v[42:43], v[72:73], s[4:5], v[42:43] op_sel:[1,0,0] op_sel_hi:[0,0,1]
	v_pk_fma_f32 v[70:71], v[72:73], s[4:5], v[70:71] op_sel:[1,0,0] op_sel_hi:[0,0,1] neg_lo:[1,0,0] neg_hi:[1,0,0]
	v_pk_add_f32 v[76:77], v[76:77], v[44:45]
	v_mov_b32_e32 v74, v70
	v_mov_b32_e32 v75, v43
	v_pk_add_f32 v[76:77], v[76:77], v[48:49]
	v_mov_b32_e32 v43, v71
	v_pk_fma_f32 v[74:75], v[34:35], s[0:1], v[74:75] op_sel_hi:[1,0,1]
	v_pk_add_f32 v[76:77], v[64:65], v[76:77]
	v_pk_fma_f32 v[34:35], v[34:35], s[0:1], v[42:43] op_sel_hi:[1,0,1]
	global_store_dwordx2 v[46:47], v[76:77], off
	global_store_dwordx2 v[56:57], v[34:35], off
	v_pk_add_f32 v[34:35], v[44:45], v[50:51] neg_lo:[0,1] neg_hi:[0,1]
	v_pk_add_f32 v[42:43], v[48:49], v[64:65] neg_lo:[0,1] neg_hi:[0,1]
	v_mov_b32_e32 v22, v53
	v_pk_add_f32 v[34:35], v[34:35], v[42:43]
	v_pk_add_f32 v[42:43], v[50:51], v[64:65]
	v_mov_b32_e32 v28, v15
	v_pk_fma_f32 v[42:43], v[42:43], 0.5, v[66:67] op_sel_hi:[1,0,1] neg_lo:[1,0,0] neg_hi:[1,0,0]
	s_waitcnt vmcnt(2)
	v_mov_b32_e32 v24, v41
	v_pk_fma_f32 v[44:45], v[72:73], s[2:3], v[42:43] op_sel:[1,0,0] op_sel_hi:[0,0,1]
	v_pk_fma_f32 v[42:43], v[72:73], s[2:3], v[42:43] op_sel:[1,0,0] op_sel_hi:[0,0,1] neg_lo:[1,0,0] neg_hi:[1,0,0]
	v_pk_fma_f32 v[42:43], v[68:69], s[4:5], v[42:43] op_sel:[1,0,0] op_sel_hi:[0,0,1]
	v_pk_fma_f32 v[44:45], v[68:69], s[4:5], v[44:45] op_sel:[1,0,0] op_sel_hi:[0,0,1] neg_lo:[1,0,0] neg_hi:[1,0,0]
	v_mov_b32_e32 v46, v44
	v_mov_b32_e32 v47, v43
	;; [unrolled: 1-line block ×3, first 2 shown]
	v_pk_fma_f32 v[46:47], v[34:35], s[0:1], v[46:47] op_sel_hi:[1,0,1]
	v_pk_fma_f32 v[34:35], v[34:35], s[0:1], v[42:43] op_sel_hi:[1,0,1]
	global_store_dwordx2 v[58:59], v[34:35], off
	global_store_dwordx2 v[60:61], v[46:47], off
	;; [unrolled: 1-line block ×3, first 2 shown]
	v_mad_u64_u32 v[34:35], s[6:7], s8, v37, 0
	v_mov_b32_e32 v14, v35
	v_mad_u64_u32 v[42:43], s[6:7], s9, v37, v[14:15]
	v_mov_b32_e32 v35, v42
	;; [unrolled: 2-line block ×4, first 2 shown]
	v_lshl_add_u64 v[36:37], v[42:43], 3, v[0:1]
	v_mad_u64_u32 v[42:43], s[6:7], s8, v7, 0
	v_mov_b32_e32 v14, v43
	v_mad_u64_u32 v[44:45], s[6:7], s9, v7, v[14:15]
	v_add_u32_e32 v7, 0x3fc, v116
	v_mov_b32_e32 v43, v44
	v_mad_u64_u32 v[44:45], s[6:7], s8, v7, 0
	v_mov_b32_e32 v14, v45
	v_mad_u64_u32 v[46:47], s[6:7], s9, v7, v[14:15]
	v_add_u32_e32 v7, 0x52e, v116
	v_mov_b32_e32 v45, v46
	v_mad_u64_u32 v[46:47], s[6:7], s8, v7, 0
	v_mov_b32_e32 v14, v47
	v_mad_u64_u32 v[48:49], s[6:7], s9, v7, v[14:15]
	v_mov_b32_e32 v47, v48
	v_pk_mul_f32 v[48:49], v[26:27], v[38:39] op_sel:[0,1] op_sel_hi:[0,0]
	v_pk_fma_f32 v[50:51], v[10:11], v[38:39], v[48:49] neg_lo:[0,0,1] neg_hi:[0,0,1]
	v_pk_fma_f32 v[38:39], v[10:11], v[38:39], v[48:49] op_sel_hi:[0,1,1]
	v_mov_b32_e32 v10, v25
	v_mov_b32_e32 v14, v25
	;; [unrolled: 1-line block ×3, first 2 shown]
	v_pk_mul_f32 v[24:25], v[22:23], v[24:25] op_sel_hi:[0,1]
	v_mov_b32_e32 v51, v39
	v_pk_fma_f32 v[38:39], v[10:11], v[40:41], v[24:25] neg_lo:[0,0,1] neg_hi:[0,0,1]
	v_pk_fma_f32 v[24:25], v[14:15], v[40:41], v[24:25] op_sel_hi:[0,1,1]
	v_mov_b32_e32 v39, v25
	v_mov_b32_e32 v22, v55
	;; [unrolled: 1-line block ×6, first 2 shown]
	v_pk_mul_f32 v[22:23], v[22:23], v[24:25] op_sel_hi:[0,1]
	v_pk_fma_f32 v[40:41], v[10:11], v[32:33], v[22:23] neg_lo:[0,0,1] neg_hi:[0,0,1]
	v_pk_fma_f32 v[22:23], v[14:15], v[32:33], v[22:23] op_sel_hi:[0,1,1]
	v_mov_b32_e32 v41, v23
	v_pk_mul_f32 v[22:23], v[18:19], v[30:31] op_sel:[0,1] op_sel_hi:[0,0]
	v_pk_fma_f32 v[48:49], v[4:5], v[30:31], v[22:23] neg_lo:[0,0,1] neg_hi:[0,0,1]
	v_pk_fma_f32 v[22:23], v[4:5], v[30:31], v[22:23] op_sel_hi:[0,1,1]
	v_mov_b32_e32 v49, v23
	v_pk_add_f32 v[22:23], v[38:39], v[48:49]
	v_pk_add_f32 v[24:25], v[40:41], v[48:49] neg_lo:[0,1] neg_hi:[0,1]
	v_pk_fma_f32 v[14:15], v[22:23], 0.5, v[28:29] op_sel_hi:[1,0,1] neg_lo:[1,0,0] neg_hi:[1,0,0]
	v_pk_add_f32 v[22:23], v[50:51], v[38:39] neg_lo:[0,1] neg_hi:[0,1]
	v_pk_add_f32 v[52:53], v[50:51], v[40:41] neg_lo:[0,1] neg_hi:[0,1]
	v_pk_add_f32 v[56:57], v[22:23], v[24:25]
	global_load_dwordx4 v[22:25], v[16:17], off offset:2328
	global_load_dwordx4 v[30:33], v[16:17], off offset:2312
	v_pk_add_f32 v[54:55], v[38:39], v[48:49] neg_lo:[0,1] neg_hi:[0,1]
	v_pk_fma_f32 v[16:17], v[52:53], s[2:3], v[14:15] op_sel:[1,0,0] op_sel_hi:[0,0,1] neg_lo:[1,0,0] neg_hi:[1,0,0]
	v_pk_fma_f32 v[14:15], v[52:53], s[2:3], v[14:15] op_sel:[1,0,0] op_sel_hi:[0,0,1]
	v_pk_add_f32 v[60:61], v[28:29], v[50:51]
	v_pk_fma_f32 v[14:15], v[54:55], s[4:5], v[14:15] op_sel:[1,0,0] op_sel_hi:[0,0,1]
	v_pk_fma_f32 v[16:17], v[54:55], s[4:5], v[16:17] op_sel:[1,0,0] op_sel_hi:[0,0,1] neg_lo:[1,0,0] neg_hi:[1,0,0]
	v_pk_add_f32 v[60:61], v[38:39], v[60:61]
	v_mov_b32_e32 v59, v15
	v_pk_add_f32 v[60:61], v[60:61], v[48:49]
	v_mov_b32_e32 v15, v17
	v_lshl_add_u64 v[34:35], v[34:35], 3, v[0:1]
	v_pk_add_f32 v[60:61], v[60:61], v[40:41]
	v_pk_fma_f32 v[14:15], v[56:57], s[0:1], v[14:15] op_sel_hi:[1,0,1]
	v_mov_b32_e32 v58, v16
	global_store_dwordx2 v[34:35], v[60:61], off
	global_store_dwordx2 v[36:37], v[14:15], off
	v_pk_add_f32 v[14:15], v[38:39], v[50:51] neg_lo:[0,1] neg_hi:[0,1]
	v_pk_add_f32 v[16:17], v[48:49], v[40:41] neg_lo:[0,1] neg_hi:[0,1]
	v_add_u32_e32 v4, 0xcc, v116
	v_pk_add_f32 v[14:15], v[14:15], v[16:17]
	v_pk_add_f32 v[16:17], v[50:51], v[40:41]
	v_lshl_add_u64 v[42:43], v[42:43], 3, v[0:1]
	v_pk_fma_f32 v[16:17], v[16:17], 0.5, v[28:29] op_sel_hi:[1,0,1] neg_lo:[1,0,0] neg_hi:[1,0,0]
	v_lshl_add_u64 v[44:45], v[44:45], 3, v[0:1]
	v_pk_fma_f32 v[28:29], v[54:55], s[2:3], v[16:17] op_sel:[1,0,0] op_sel_hi:[0,0,1]
	v_pk_fma_f32 v[16:17], v[54:55], s[2:3], v[16:17] op_sel:[1,0,0] op_sel_hi:[0,0,1] neg_lo:[1,0,0] neg_hi:[1,0,0]
	s_mov_b32 s3, 0xd62b80d7
	v_pk_fma_f32 v[16:17], v[52:53], s[4:5], v[16:17] op_sel:[1,0,0] op_sel_hi:[0,0,1]
	v_pk_fma_f32 v[28:29], v[52:53], s[4:5], v[28:29] op_sel:[1,0,0] op_sel_hi:[0,0,1] neg_lo:[1,0,0] neg_hi:[1,0,0]
	v_mul_hi_u32 v7, v4, s3
	v_mov_b32_e32 v34, v28
	v_mov_b32_e32 v35, v17
	v_mov_b32_e32 v17, v29
	v_lshrrev_b32_e32 v7, 8, v7
	v_pk_fma_f32 v[34:35], v[14:15], s[0:1], v[34:35] op_sel_hi:[1,0,1]
	v_pk_fma_f32 v[14:15], v[14:15], s[0:1], v[16:17] op_sel_hi:[1,0,1]
	v_mad_u32_u24 v7, v7, s1, v4
	v_lshl_add_u64 v[46:47], v[46:47], 3, v[0:1]
	v_pk_fma_f32 v[58:59], v[56:57], s[0:1], v[58:59] op_sel_hi:[1,0,1]
	global_store_dwordx2 v[42:43], v[14:15], off
	global_store_dwordx2 v[44:45], v[34:35], off
	;; [unrolled: 1-line block ×3, first 2 shown]
	v_mad_u64_u32 v[14:15], s[6:7], s8, v7, 0
	v_mov_b32_e32 v4, v15
	v_mad_u64_u32 v[16:17], s[6:7], s9, v7, v[4:5]
	v_add_u32_e32 v9, 0x132, v7
	v_mov_b32_e32 v15, v16
	v_mad_u64_u32 v[16:17], s[6:7], s8, v9, 0
	v_mov_b32_e32 v4, v17
	v_mad_u64_u32 v[28:29], s[6:7], s9, v9, v[4:5]
	v_add_u32_e32 v9, 0x264, v7
	v_mov_b32_e32 v17, v28
	;; [unrolled: 5-line block ×4, first 2 shown]
	v_mad_u64_u32 v[36:37], s[6:7], s8, v7, 0
	v_mov_b32_e32 v4, v37
	v_mad_u64_u32 v[38:39], s[6:7], s9, v7, v[4:5]
	v_mov_b32_e32 v18, v27
	v_mov_b32_e32 v37, v38
	;; [unrolled: 1-line block ×4, first 2 shown]
	v_lshl_add_u64 v[14:15], v[14:15], 3, v[0:1]
	v_lshl_add_u64 v[16:17], v[16:17], 3, v[0:1]
	s_waitcnt vmcnt(5)
	v_pk_mul_f32 v[26:27], v[18:19], v[30:31] op_sel:[0,1] op_sel_hi:[0,0]
	v_lshl_add_u64 v[28:29], v[28:29], 3, v[0:1]
	v_lshl_add_u64 v[34:35], v[34:35], 3, v[0:1]
	;; [unrolled: 1-line block ×3, first 2 shown]
	v_pk_fma_f32 v[36:37], v[4:5], v[30:31], v[26:27] neg_lo:[0,0,1] neg_hi:[0,0,1]
	v_pk_fma_f32 v[10:11], v[10:11], v[30:31], v[26:27] op_sel_hi:[0,1,1]
	v_mov_b32_e32 v37, v11
	v_mov_b32_e32 v10, v33
	;; [unrolled: 1-line block ×3, first 2 shown]
	v_pk_mul_f32 v[10:11], v[20:21], v[10:11] op_sel_hi:[0,1]
	v_pk_fma_f32 v[20:21], v[6:7], v[32:33], v[10:11] neg_lo:[0,0,1] neg_hi:[0,0,1]
	v_pk_fma_f32 v[6:7], v[6:7], v[32:33], v[10:11] op_sel_hi:[0,1,1]
	v_mov_b32_e32 v21, v7
	v_mov_b32_e32 v6, v25
	;; [unrolled: 1-line block ×3, first 2 shown]
	v_pk_mul_f32 v[6:7], v[12:13], v[6:7] op_sel_hi:[0,1]
	v_pk_fma_f32 v[10:11], v[8:9], v[24:25], v[6:7] neg_lo:[0,0,1] neg_hi:[0,0,1]
	v_pk_fma_f32 v[6:7], v[8:9], v[24:25], v[6:7] op_sel_hi:[0,1,1]
	v_mov_b32_e32 v8, v19
	v_mov_b32_e32 v4, v5
	;; [unrolled: 1-line block ×3, first 2 shown]
	v_pk_mul_f32 v[8:9], v[8:9], v[22:23] op_sel:[0,1] op_sel_hi:[0,0]
	v_mov_b32_e32 v11, v7
	v_pk_fma_f32 v[4:5], v[4:5], v[22:23], v[8:9] neg_lo:[0,0,1] neg_hi:[0,0,1]
	v_pk_fma_f32 v[6:7], v[6:7], v[22:23], v[8:9] op_sel_hi:[0,1,1]
	v_mov_b32_e32 v5, v7
	v_pk_add_f32 v[12:13], v[20:21], v[4:5]
	v_pk_add_f32 v[6:7], v[36:37], v[10:11] neg_lo:[0,1] neg_hi:[0,1]
	v_pk_fma_f32 v[12:13], v[12:13], 0.5, v[2:3] op_sel_hi:[1,0,1] neg_lo:[1,0,0] neg_hi:[1,0,0]
	v_pk_add_f32 v[18:19], v[36:37], v[20:21] neg_lo:[0,1] neg_hi:[0,1]
	v_pk_add_f32 v[22:23], v[10:11], v[4:5] neg_lo:[0,1] neg_hi:[0,1]
	;; [unrolled: 1-line block ×3, first 2 shown]
	v_pk_add_f32 v[18:19], v[18:19], v[22:23]
	v_pk_fma_f32 v[22:23], v[6:7], s[2:3], v[12:13] op_sel:[1,0,0] op_sel_hi:[0,0,1] neg_lo:[1,0,0] neg_hi:[1,0,0]
	v_pk_fma_f32 v[12:13], v[6:7], s[2:3], v[12:13] op_sel:[1,0,0] op_sel_hi:[0,0,1]
	v_pk_add_f32 v[26:27], v[2:3], v[36:37]
	v_pk_fma_f32 v[12:13], v[8:9], s[4:5], v[12:13] op_sel:[1,0,0] op_sel_hi:[0,0,1]
	v_pk_fma_f32 v[22:23], v[8:9], s[4:5], v[22:23] op_sel:[1,0,0] op_sel_hi:[0,0,1] neg_lo:[1,0,0] neg_hi:[1,0,0]
	v_pk_add_f32 v[26:27], v[20:21], v[26:27]
	v_mov_b32_e32 v25, v13
	v_pk_add_f32 v[26:27], v[26:27], v[4:5]
	v_mov_b32_e32 v13, v23
	v_pk_add_f32 v[26:27], v[26:27], v[10:11]
	v_pk_fma_f32 v[12:13], v[18:19], s[0:1], v[12:13] op_sel_hi:[1,0,1]
	global_store_dwordx2 v[14:15], v[26:27], off
	global_store_dwordx2 v[16:17], v[12:13], off
	v_pk_add_f32 v[12:13], v[36:37], v[10:11]
	v_pk_add_f32 v[4:5], v[4:5], v[10:11] neg_lo:[0,1] neg_hi:[0,1]
	v_pk_fma_f32 v[2:3], v[12:13], 0.5, v[2:3] op_sel_hi:[1,0,1] neg_lo:[1,0,0] neg_hi:[1,0,0]
	v_pk_add_f32 v[12:13], v[20:21], v[36:37] neg_lo:[0,1] neg_hi:[0,1]
	v_pk_fma_f32 v[10:11], v[8:9], s[2:3], v[2:3] op_sel:[1,0,0] op_sel_hi:[0,0,1]
	v_pk_fma_f32 v[2:3], v[8:9], s[2:3], v[2:3] op_sel:[1,0,0] op_sel_hi:[0,0,1] neg_lo:[1,0,0] neg_hi:[1,0,0]
	v_pk_fma_f32 v[2:3], v[6:7], s[4:5], v[2:3] op_sel:[1,0,0] op_sel_hi:[0,0,1]
	v_pk_fma_f32 v[6:7], v[6:7], s[4:5], v[10:11] op_sel:[1,0,0] op_sel_hi:[0,0,1] neg_lo:[1,0,0] neg_hi:[1,0,0]
	v_pk_add_f32 v[4:5], v[12:13], v[4:5]
	v_mov_b32_e32 v9, v3
	v_mov_b32_e32 v3, v7
	;; [unrolled: 1-line block ×4, first 2 shown]
	v_pk_fma_f32 v[2:3], v[4:5], s[0:1], v[2:3] op_sel_hi:[1,0,1]
	v_pk_fma_f32 v[24:25], v[18:19], s[0:1], v[24:25] op_sel_hi:[1,0,1]
	;; [unrolled: 1-line block ×3, first 2 shown]
	global_store_dwordx2 v[28:29], v[2:3], off
	global_store_dwordx2 v[34:35], v[8:9], off
	;; [unrolled: 1-line block ×3, first 2 shown]
.LBB0_25:
	s_endpgm
	.section	.rodata,"a",@progbits
	.p2align	6, 0x0
	.amdhsa_kernel fft_rtc_fwd_len1530_factors_17_3_6_5_wgs_102_tpt_102_halfLds_sp_ip_CI_sbrr_dirReg
		.amdhsa_group_segment_fixed_size 0
		.amdhsa_private_segment_fixed_size 0
		.amdhsa_kernarg_size 88
		.amdhsa_user_sgpr_count 2
		.amdhsa_user_sgpr_dispatch_ptr 0
		.amdhsa_user_sgpr_queue_ptr 0
		.amdhsa_user_sgpr_kernarg_segment_ptr 1
		.amdhsa_user_sgpr_dispatch_id 0
		.amdhsa_user_sgpr_kernarg_preload_length 0
		.amdhsa_user_sgpr_kernarg_preload_offset 0
		.amdhsa_user_sgpr_private_segment_size 0
		.amdhsa_uses_dynamic_stack 0
		.amdhsa_enable_private_segment 0
		.amdhsa_system_sgpr_workgroup_id_x 1
		.amdhsa_system_sgpr_workgroup_id_y 0
		.amdhsa_system_sgpr_workgroup_id_z 0
		.amdhsa_system_sgpr_workgroup_info 0
		.amdhsa_system_vgpr_workitem_id 0
		.amdhsa_next_free_vgpr 159
		.amdhsa_next_free_sgpr 76
		.amdhsa_accum_offset 160
		.amdhsa_reserve_vcc 1
		.amdhsa_float_round_mode_32 0
		.amdhsa_float_round_mode_16_64 0
		.amdhsa_float_denorm_mode_32 3
		.amdhsa_float_denorm_mode_16_64 3
		.amdhsa_dx10_clamp 1
		.amdhsa_ieee_mode 1
		.amdhsa_fp16_overflow 0
		.amdhsa_tg_split 0
		.amdhsa_exception_fp_ieee_invalid_op 0
		.amdhsa_exception_fp_denorm_src 0
		.amdhsa_exception_fp_ieee_div_zero 0
		.amdhsa_exception_fp_ieee_overflow 0
		.amdhsa_exception_fp_ieee_underflow 0
		.amdhsa_exception_fp_ieee_inexact 0
		.amdhsa_exception_int_div_zero 0
	.end_amdhsa_kernel
	.text
.Lfunc_end0:
	.size	fft_rtc_fwd_len1530_factors_17_3_6_5_wgs_102_tpt_102_halfLds_sp_ip_CI_sbrr_dirReg, .Lfunc_end0-fft_rtc_fwd_len1530_factors_17_3_6_5_wgs_102_tpt_102_halfLds_sp_ip_CI_sbrr_dirReg
                                        ; -- End function
	.section	.AMDGPU.csdata,"",@progbits
; Kernel info:
; codeLenInByte = 12764
; NumSgprs: 82
; NumVgprs: 159
; NumAgprs: 0
; TotalNumVgprs: 159
; ScratchSize: 0
; MemoryBound: 0
; FloatMode: 240
; IeeeMode: 1
; LDSByteSize: 0 bytes/workgroup (compile time only)
; SGPRBlocks: 10
; VGPRBlocks: 19
; NumSGPRsForWavesPerEU: 82
; NumVGPRsForWavesPerEU: 159
; AccumOffset: 160
; Occupancy: 3
; WaveLimiterHint : 1
; COMPUTE_PGM_RSRC2:SCRATCH_EN: 0
; COMPUTE_PGM_RSRC2:USER_SGPR: 2
; COMPUTE_PGM_RSRC2:TRAP_HANDLER: 0
; COMPUTE_PGM_RSRC2:TGID_X_EN: 1
; COMPUTE_PGM_RSRC2:TGID_Y_EN: 0
; COMPUTE_PGM_RSRC2:TGID_Z_EN: 0
; COMPUTE_PGM_RSRC2:TIDIG_COMP_CNT: 0
; COMPUTE_PGM_RSRC3_GFX90A:ACCUM_OFFSET: 39
; COMPUTE_PGM_RSRC3_GFX90A:TG_SPLIT: 0
	.text
	.p2alignl 6, 3212836864
	.fill 256, 4, 3212836864
	.type	__hip_cuid_ab360f761c10b870,@object ; @__hip_cuid_ab360f761c10b870
	.section	.bss,"aw",@nobits
	.globl	__hip_cuid_ab360f761c10b870
__hip_cuid_ab360f761c10b870:
	.byte	0                               ; 0x0
	.size	__hip_cuid_ab360f761c10b870, 1

	.ident	"AMD clang version 19.0.0git (https://github.com/RadeonOpenCompute/llvm-project roc-6.4.0 25133 c7fe45cf4b819c5991fe208aaa96edf142730f1d)"
	.section	".note.GNU-stack","",@progbits
	.addrsig
	.addrsig_sym __hip_cuid_ab360f761c10b870
	.amdgpu_metadata
---
amdhsa.kernels:
  - .agpr_count:     0
    .args:
      - .actual_access:  read_only
        .address_space:  global
        .offset:         0
        .size:           8
        .value_kind:     global_buffer
      - .offset:         8
        .size:           8
        .value_kind:     by_value
      - .actual_access:  read_only
        .address_space:  global
        .offset:         16
        .size:           8
        .value_kind:     global_buffer
      - .actual_access:  read_only
        .address_space:  global
        .offset:         24
        .size:           8
        .value_kind:     global_buffer
      - .offset:         32
        .size:           8
        .value_kind:     by_value
      - .actual_access:  read_only
        .address_space:  global
        .offset:         40
        .size:           8
        .value_kind:     global_buffer
      - .actual_access:  read_only
        .address_space:  global
        .offset:         48
        .size:           8
        .value_kind:     global_buffer
      - .offset:         56
        .size:           4
        .value_kind:     by_value
      - .actual_access:  read_only
        .address_space:  global
        .offset:         64
        .size:           8
        .value_kind:     global_buffer
      - .actual_access:  read_only
        .address_space:  global
        .offset:         72
        .size:           8
        .value_kind:     global_buffer
      - .address_space:  global
        .offset:         80
        .size:           8
        .value_kind:     global_buffer
    .group_segment_fixed_size: 0
    .kernarg_segment_align: 8
    .kernarg_segment_size: 88
    .language:       OpenCL C
    .language_version:
      - 2
      - 0
    .max_flat_workgroup_size: 102
    .name:           fft_rtc_fwd_len1530_factors_17_3_6_5_wgs_102_tpt_102_halfLds_sp_ip_CI_sbrr_dirReg
    .private_segment_fixed_size: 0
    .sgpr_count:     82
    .sgpr_spill_count: 0
    .symbol:         fft_rtc_fwd_len1530_factors_17_3_6_5_wgs_102_tpt_102_halfLds_sp_ip_CI_sbrr_dirReg.kd
    .uniform_work_group_size: 1
    .uses_dynamic_stack: false
    .vgpr_count:     159
    .vgpr_spill_count: 0
    .wavefront_size: 64
amdhsa.target:   amdgcn-amd-amdhsa--gfx950
amdhsa.version:
  - 1
  - 2
...

	.end_amdgpu_metadata
